;; amdgpu-corpus repo=ROCm/rocFFT kind=compiled arch=gfx90a opt=O3
	.text
	.amdgcn_target "amdgcn-amd-amdhsa--gfx90a"
	.amdhsa_code_object_version 6
	.protected	bluestein_single_back_len1683_dim1_dp_op_CI_CI ; -- Begin function bluestein_single_back_len1683_dim1_dp_op_CI_CI
	.globl	bluestein_single_back_len1683_dim1_dp_op_CI_CI
	.p2align	8
	.type	bluestein_single_back_len1683_dim1_dp_op_CI_CI,@function
bluestein_single_back_len1683_dim1_dp_op_CI_CI: ; @bluestein_single_back_len1683_dim1_dp_op_CI_CI
; %bb.0:
	s_load_dwordx4 s[8:11], s[4:5], 0x28
	s_mov_b64 s[66:67], s[2:3]
	s_mov_b64 s[64:65], s[0:1]
	v_mul_u32_u24_e32 v1, 0x506, v0
	s_add_u32 s64, s64, s7
	v_add_u32_sdwa v6, s6, v1 dst_sel:DWORD dst_unused:UNUSED_PAD src0_sel:DWORD src1_sel:WORD_1
	v_mov_b32_e32 v7, 0
	s_addc_u32 s65, s65, 0
	s_waitcnt lgkmcnt(0)
	v_cmp_gt_u64_e32 vcc, s[8:9], v[6:7]
	s_and_saveexec_b64 s[0:1], vcc
	s_cbranch_execz .LBB0_15
; %bb.1:
	s_load_dwordx4 s[0:3], s[4:5], 0x18
	s_load_dwordx2 s[6:7], s[4:5], 0x0
	v_mov_b32_e32 v2, 51
	v_mul_lo_u16_sdwa v1, v1, v2 dst_sel:DWORD dst_unused:UNUSED_PAD src0_sel:WORD_1 src1_sel:DWORD
	v_sub_u16_e32 v144, v0, v1
	s_waitcnt lgkmcnt(0)
	s_load_dwordx4 s[12:15], s[0:1], 0x0
	v_lshlrev_b32_e32 v248, 4, v144
	v_accvgpr_write_b32 a4, v6
	global_load_dwordx4 v[90:93], v248, s[6:7]
	s_waitcnt lgkmcnt(0)
	v_mad_u64_u32 v[0:1], s[0:1], s14, v6, 0
	v_mov_b32_e32 v4, v1
	v_mad_u64_u32 v[2:3], s[0:1], s12, v144, 0
	v_mad_u64_u32 v[4:5], s[0:1], s15, v6, v[4:5]
	v_mov_b32_e32 v1, v4
	v_mov_b32_e32 v4, v3
	v_mad_u64_u32 v[4:5], s[0:1], s13, v144, v[4:5]
	v_lshlrev_b64 v[0:1], 4, v[0:1]
	v_mov_b32_e32 v3, v4
	v_mov_b32_e32 v4, s11
	v_add_co_u32_e32 v58, vcc, s10, v0
	v_addc_co_u32_e32 v59, vcc, v4, v1, vcc
	v_lshlrev_b64 v[0:1], 4, v[2:3]
	v_add_co_u32_e32 v4, vcc, v58, v0
	v_addc_co_u32_e32 v5, vcc, v59, v1, vcc
	v_mov_b32_e32 v6, s7
	v_add_co_u32_e32 v88, vcc, s6, v248
	s_movk_i32 s0, 0x1000
	v_addc_co_u32_e32 v89, vcc, 0, v6, vcc
	v_add_co_u32_e32 v44, vcc, s0, v88
	s_movk_i32 s1, 0x2000
	v_addc_co_u32_e32 v45, vcc, 0, v89, vcc
	s_load_dwordx4 s[8:11], s[2:3], 0x0
	v_add_co_u32_e32 v46, vcc, s1, v88
	s_mul_i32 s1, s13, 0x63
	s_mul_hi_u32 s2, s12, 0x63
	s_mul_i32 s0, s12, 0x63
	s_add_i32 s1, s2, s1
	v_addc_co_u32_e32 v47, vcc, 0, v89, vcc
	s_lshl_b64 s[2:3], s[0:1], 4
	global_load_dwordx4 v[0:3], v[4:5], off
	v_mov_b32_e32 v52, s3
	v_add_co_u32_e32 v4, vcc, s2, v4
	v_addc_co_u32_e32 v5, vcc, v5, v52, vcc
	global_load_dwordx4 v[158:161], v248, s[6:7] offset:1584
	global_load_dwordx4 v[154:157], v248, s[6:7] offset:3168
	global_load_dwordx4 v[150:153], v[44:45], off offset:656
	global_load_dwordx4 v[126:129], v[44:45], off offset:2240
	;; [unrolled: 1-line block ×5, first 2 shown]
	global_load_dwordx4 v[24:27], v[4:5], off
	v_add_co_u32_e32 v4, vcc, s2, v4
	v_addc_co_u32_e32 v5, vcc, v5, v52, vcc
	v_add_co_u32_e32 v6, vcc, s2, v4
	v_addc_co_u32_e32 v7, vcc, v5, v52, vcc
	global_load_dwordx4 v[28:31], v[4:5], off
	global_load_dwordx4 v[20:23], v[6:7], off
	v_add_co_u32_e32 v4, vcc, s2, v6
	v_addc_co_u32_e32 v5, vcc, v7, v52, vcc
	global_load_dwordx4 v[16:19], v[4:5], off
	v_add_co_u32_e32 v4, vcc, s2, v4
	v_addc_co_u32_e32 v5, vcc, v5, v52, vcc
	;; [unrolled: 3-line block ×3, first 2 shown]
	v_add_co_u32_e32 v32, vcc, s2, v4
	v_addc_co_u32_e32 v33, vcc, v5, v52, vcc
	v_add_co_u32_e32 v38, vcc, s2, v32
	v_addc_co_u32_e32 v39, vcc, v33, v52, vcc
	s_movk_i32 s0, 0x3000
	v_add_co_u32_e32 v54, vcc, s0, v88
	v_addc_co_u32_e32 v55, vcc, 0, v89, vcc
	global_load_dwordx4 v[8:11], v[4:5], off
	s_movk_i32 s0, 0x4000
	global_load_dwordx4 v[4:7], v[32:33], off
	s_load_dwordx2 s[14:15], s[4:5], 0x38
	global_load_dwordx4 v[32:35], v[38:39], off
	v_add_co_u32_e32 v38, vcc, s2, v38
	v_addc_co_u32_e32 v39, vcc, v39, v52, vcc
	global_load_dwordx4 v[40:43], v[38:39], off
	global_load_dwordx4 v[134:137], v[54:55], off offset:384
	global_load_dwordx4 v[118:121], v[54:55], off offset:1968
	v_add_co_u32_e32 v38, vcc, s2, v38
	v_addc_co_u32_e32 v39, vcc, v39, v52, vcc
	global_load_dwordx4 v[60:63], v[38:39], off
	global_load_dwordx4 v[102:105], v[54:55], off offset:3552
	v_add_co_u32_e32 v38, vcc, s2, v38
	v_addc_co_u32_e32 v39, vcc, v39, v52, vcc
	v_add_co_u32_e32 v48, vcc, s0, v88
	v_addc_co_u32_e32 v49, vcc, 0, v89, vcc
	global_load_dwordx4 v[64:67], v[38:39], off
	v_add_co_u32_e32 v38, vcc, s2, v38
	v_addc_co_u32_e32 v39, vcc, v39, v52, vcc
	global_load_dwordx4 v[68:71], v[38:39], off
	global_load_dwordx4 v[138:141], v[48:49], off offset:1040
	global_load_dwordx4 v[106:109], v[48:49], off offset:2624
	v_add_co_u32_e32 v38, vcc, s2, v38
	v_addc_co_u32_e32 v39, vcc, v39, v52, vcc
	s_movk_i32 s0, 0x5000
	v_add_co_u32_e32 v50, vcc, s0, v88
	v_addc_co_u32_e32 v51, vcc, 0, v89, vcc
	global_load_dwordx4 v[72:75], v[38:39], off
	v_add_co_u32_e32 v38, vcc, s2, v38
	v_addc_co_u32_e32 v39, vcc, v39, v52, vcc
	global_load_dwordx4 v[76:79], v[38:39], off
	global_load_dwordx4 v[146:149], v[50:51], off offset:112
	global_load_dwordx4 v[114:117], v[50:51], off offset:1696
	v_add_co_u32_e32 v38, vcc, s2, v38
	s_waitcnt vmcnt(28)
	v_mul_f64 v[36:37], v[2:3], v[92:93]
	v_addc_co_u32_e32 v39, vcc, v39, v52, vcc
	v_add_co_u32_e32 v56, vcc, s2, v38
	v_fmac_f64_e32 v[36:37], v[0:1], v[90:91]
	v_mul_f64 v[0:1], v[0:1], v[92:93]
	global_load_dwordx4 v[80:83], v[38:39], off
	global_load_dwordx4 v[122:125], v[50:51], off offset:3280
	v_addc_co_u32_e32 v57, vcc, v39, v52, vcc
	v_fma_f64 v[38:39], v[2:3], v[90:91], -v[0:1]
	s_waitcnt vmcnt(22)
	v_mul_f64 v[0:1], v[26:27], v[160:161]
	v_mul_f64 v[2:3], v[24:25], v[160:161]
	v_fmac_f64_e32 v[0:1], v[24:25], v[158:159]
	v_fma_f64 v[2:3], v[26:27], v[158:159], -v[2:3]
	s_movk_i32 s0, 0x6000
	ds_write_b128 v248, v[0:3] offset:1584
	s_waitcnt vmcnt(21)
	v_mul_f64 v[0:1], v[30:31], v[156:157]
	v_mul_f64 v[2:3], v[28:29], v[156:157]
	v_add_co_u32_e32 v52, vcc, s0, v88
	v_fmac_f64_e32 v[0:1], v[28:29], v[154:155]
	v_fma_f64 v[2:3], v[30:31], v[154:155], -v[2:3]
	v_addc_co_u32_e32 v53, vcc, 0, v89, vcc
	ds_write_b128 v248, v[0:3] offset:3168
	s_waitcnt vmcnt(20)
	v_mul_f64 v[0:1], v[22:23], v[152:153]
	global_load_dwordx4 v[84:87], v[56:57], off
	global_load_dwordx4 v[130:133], v[52:53], off offset:768
	ds_write_b128 v248, v[36:39]
	v_fmac_f64_e32 v[0:1], v[20:21], v[150:151]
	v_mul_f64 v[2:3], v[20:21], v[152:153]
	buffer_store_dword v150, off, s[64:67], 0 offset:224 ; 4-byte Folded Spill
	s_nop 0
	buffer_store_dword v151, off, s[64:67], 0 offset:228 ; 4-byte Folded Spill
	buffer_store_dword v152, off, s[64:67], 0 offset:232 ; 4-byte Folded Spill
	;; [unrolled: 1-line block ×3, first 2 shown]
	v_accvgpr_write_b32 a2, v88
	v_accvgpr_write_b32 a6, v90
	;; [unrolled: 1-line block ×14, first 2 shown]
	v_cmp_gt_u16_e32 vcc, 48, v144
	v_fma_f64 v[2:3], v[22:23], v[150:151], -v[2:3]
	ds_write_b128 v248, v[0:3] offset:4752
	s_waitcnt vmcnt(25)
	v_mul_f64 v[0:1], v[18:19], v[128:129]
	v_fmac_f64_e32 v[0:1], v[16:17], v[126:127]
	v_mul_f64 v[2:3], v[16:17], v[128:129]
	buffer_store_dword v126, off, s[64:67], 0 offset:208 ; 4-byte Folded Spill
	s_nop 0
	buffer_store_dword v127, off, s[64:67], 0 offset:212 ; 4-byte Folded Spill
	buffer_store_dword v128, off, s[64:67], 0 offset:216 ; 4-byte Folded Spill
	buffer_store_dword v129, off, s[64:67], 0 offset:220 ; 4-byte Folded Spill
	v_fma_f64 v[2:3], v[18:19], v[126:127], -v[2:3]
	ds_write_b128 v248, v[0:3] offset:6336
	s_waitcnt vmcnt(28)
	v_mul_f64 v[0:1], v[14:15], v[112:113]
	v_fmac_f64_e32 v[0:1], v[12:13], v[110:111]
	v_mul_f64 v[2:3], v[12:13], v[112:113]
	buffer_store_dword v110, off, s[64:67], 0 offset:192 ; 4-byte Folded Spill
	s_nop 0
	buffer_store_dword v111, off, s[64:67], 0 offset:196 ; 4-byte Folded Spill
	buffer_store_dword v112, off, s[64:67], 0 offset:200 ; 4-byte Folded Spill
	buffer_store_dword v113, off, s[64:67], 0 offset:204 ; 4-byte Folded Spill
	;; [unrolled: 11-line block ×13, first 2 shown]
	v_fma_f64 v[2:3], v[86:87], v[130:131], -v[2:3]
	ds_write_b128 v248, v[0:3] offset:25344
	s_and_saveexec_b64 s[16:17], vcc
	s_cbranch_execz .LBB0_3
; %bb.2:
	v_mov_b32_e32 v0, 0xffffa030
	v_mad_u64_u32 v[56:57], s[0:1], s12, v0, v[56:57]
	s_mul_i32 s0, s13, 0xffffa030
	s_sub_i32 s0, s0, s12
	v_add_u32_e32 v57, s0, v57
	v_mov_b32_e32 v124, s3
	v_add_co_u32_e64 v64, s[0:1], s2, v56
	v_addc_co_u32_e64 v65, s[0:1], v57, v124, s[0:1]
	v_add_co_u32_e64 v68, s[0:1], s2, v64
	v_addc_co_u32_e64 v69, s[0:1], v65, v124, s[0:1]
	v_accvgpr_read_b32 v13, a3
	v_add_co_u32_e64 v72, s[0:1], s2, v68
	v_accvgpr_read_b32 v12, a2
	v_addc_co_u32_e64 v73, s[0:1], v69, v124, s[0:1]
	global_load_dwordx4 v[0:3], v[56:57], off
	global_load_dwordx4 v[4:7], v[12:13], off offset:816
	v_add_co_u32_e64 v76, s[0:1], s2, v72
	v_addc_co_u32_e64 v77, s[0:1], v73, v124, s[0:1]
	global_load_dwordx4 v[8:11], v[12:13], off offset:2400
	s_nop 0
	global_load_dwordx4 v[12:15], v[12:13], off offset:3984
	s_nop 0
	global_load_dwordx4 v[16:19], v[44:45], off offset:1472
	global_load_dwordx4 v[20:23], v[44:45], off offset:3056
	;; [unrolled: 1-line block ×5, first 2 shown]
                                        ; kill: killed $vgpr46 killed $vgpr47
                                        ; kill: killed $vgpr44 killed $vgpr45
	global_load_dwordx4 v[36:39], v[54:55], off offset:1200
	global_load_dwordx4 v[40:43], v[54:55], off offset:2784
	s_nop 0
	global_load_dwordx4 v[44:47], v[48:49], off offset:272
	global_load_dwordx4 v[60:63], v[48:49], off offset:1856
	v_add_co_u32_e64 v80, s[0:1], s2, v76
	global_load_dwordx4 v[54:57], v[64:65], off
	v_addc_co_u32_e64 v81, s[0:1], v77, v124, s[0:1]
	global_load_dwordx4 v[64:67], v[68:69], off
	v_add_co_u32_e64 v84, s[0:1], s2, v80
	v_addc_co_u32_e64 v85, s[0:1], v81, v124, s[0:1]
	global_load_dwordx4 v[68:71], v[72:73], off
	v_add_co_u32_e64 v88, s[0:1], s2, v84
	;; [unrolled: 3-line block ×7, first 2 shown]
	v_addc_co_u32_e64 v111, s[0:1], v105, v124, s[0:1]
	global_load_dwordx4 v[92:95], v[96:97], off
	v_or_b32_e32 v132, 0x600, v144
	global_load_dwordx4 v[96:99], v[100:101], off
	s_waitcnt vmcnt(21)
	v_mul_f64 v[108:109], v[2:3], v[6:7]
	global_load_dwordx4 v[100:103], v[104:105], off
	v_fmac_f64_e32 v[108:109], v[0:1], v[4:5]
	global_load_dwordx4 v[104:107], v[110:111], off
	v_add_co_u32_e64 v110, s[0:1], s2, v110
	v_addc_co_u32_e64 v111, s[0:1], v111, v124, s[0:1]
	global_load_dwordx4 v[112:115], v[110:111], off
	global_load_dwordx4 v[116:119], v[48:49], off offset:3440
	global_load_dwordx4 v[120:123], v[50:51], off offset:928
	v_add_co_u32_e64 v110, s[0:1], s2, v110
	v_addc_co_u32_e64 v111, s[0:1], v111, v124, s[0:1]
	v_mad_u64_u32 v[48:49], s[0:1], s12, v132, 0
	v_mov_b32_e32 v128, v49
	v_mad_u64_u32 v[128:129], s[0:1], s13, v132, v[128:129]
	v_mov_b32_e32 v49, v128
	v_lshlrev_b64 v[48:49], 4, v[48:49]
	v_add_co_u32_e64 v58, s[0:1], v58, v48
	global_load_dwordx4 v[124:127], v[110:111], off
	v_addc_co_u32_e64 v59, s[0:1], v59, v49, s[0:1]
	global_load_dwordx4 v[48:51], v[50:51], off offset:2512
	s_nop 0
	global_load_dwordx4 v[128:131], v[58:59], off
	v_lshlrev_b32_e32 v58, 4, v132
	global_load_dwordx4 v[132:135], v58, s[6:7]
	v_mov_b32_e32 v58, 0xc60
	v_mad_u64_u32 v[58:59], s[0:1], s12, v58, v[110:111]
	s_mul_i32 s0, s13, 0xc60
	v_add_u32_e32 v59, s0, v59
	global_load_dwordx4 v[136:139], v[58:59], off
	global_load_dwordx4 v[140:143], v[52:53], off offset:1584
	v_mul_f64 v[0:1], v[0:1], v[6:7]
	v_fma_f64 v[110:111], v[2:3], v[4:5], -v[0:1]
	s_waitcnt vmcnt(20)
	v_mul_f64 v[0:1], v[56:57], v[10:11]
	v_mul_f64 v[2:3], v[54:55], v[10:11]
	v_fmac_f64_e32 v[0:1], v[54:55], v[8:9]
	v_fma_f64 v[2:3], v[56:57], v[8:9], -v[2:3]
	ds_write_b128 v248, v[0:3] offset:2400
	s_waitcnt vmcnt(19)
	v_mul_f64 v[0:1], v[66:67], v[14:15]
	v_mul_f64 v[2:3], v[64:65], v[14:15]
	v_fmac_f64_e32 v[0:1], v[64:65], v[12:13]
	v_fma_f64 v[2:3], v[66:67], v[12:13], -v[2:3]
	ds_write_b128 v248, v[0:3] offset:3984
	;; [unrolled: 6-line block ×13, first 2 shown]
	ds_write_b128 v248, v[108:111] offset:816
	s_waitcnt vmcnt(4)
	v_mul_f64 v[0:1], v[126:127], v[50:51]
	v_mul_f64 v[2:3], v[124:125], v[50:51]
	v_fmac_f64_e32 v[0:1], v[124:125], v[48:49]
	v_fma_f64 v[2:3], v[126:127], v[48:49], -v[2:3]
	ds_write_b128 v248, v[0:3] offset:22992
	s_waitcnt vmcnt(2)
	v_mul_f64 v[0:1], v[130:131], v[134:135]
	v_mul_f64 v[2:3], v[128:129], v[134:135]
	v_fmac_f64_e32 v[0:1], v[128:129], v[132:133]
	v_fma_f64 v[2:3], v[130:131], v[132:133], -v[2:3]
	;; [unrolled: 6-line block ×3, first 2 shown]
	ds_write_b128 v248, v[0:3] offset:26160
.LBB0_3:
	s_or_b64 exec, exec, s[16:17]
	s_waitcnt lgkmcnt(0)
	; wave barrier
	s_waitcnt lgkmcnt(0)
	ds_read_b128 v[124:127], v248
	ds_read_b128 v[132:135], v248 offset:1584
	ds_read_b128 v[120:123], v248 offset:3168
	;; [unrolled: 1-line block ×16, first 2 shown]
	s_load_dwordx2 s[4:5], s[4:5], 0x8
                                        ; implicit-def: $vgpr0_vgpr1
                                        ; implicit-def: $vgpr4_vgpr5
                                        ; implicit-def: $vgpr8_vgpr9
                                        ; implicit-def: $vgpr12_vgpr13
                                        ; implicit-def: $vgpr16_vgpr17
                                        ; implicit-def: $vgpr20_vgpr21
                                        ; implicit-def: $vgpr24_vgpr25
                                        ; implicit-def: $vgpr28_vgpr29
                                        ; implicit-def: $vgpr32_vgpr33
                                        ; implicit-def: $vgpr36_vgpr37
                                        ; implicit-def: $vgpr40_vgpr41
                                        ; implicit-def: $vgpr44_vgpr45
                                        ; implicit-def: $vgpr48_vgpr49
                                        ; implicit-def: $vgpr52_vgpr53
                                        ; implicit-def: $vgpr56_vgpr57
                                        ; implicit-def: $vgpr60_vgpr61
                                        ; implicit-def: $vgpr64_vgpr65
	s_and_saveexec_b64 s[0:1], vcc
	s_cbranch_execz .LBB0_5
; %bb.4:
	ds_read_b128 v[0:3], v248 offset:816
	ds_read_b128 v[4:7], v248 offset:2400
	;; [unrolled: 1-line block ×17, first 2 shown]
.LBB0_5:
	s_or_b64 exec, exec, s[0:1]
	s_waitcnt lgkmcnt(0)
	v_add_f64 v[92:93], v[124:125], v[132:133]
	v_add_f64 v[94:95], v[126:127], v[134:135]
	;; [unrolled: 1-line block ×25, first 2 shown]
	v_add_co_u32_e64 v254, s[0:1], 51, v144
	v_add_f64 v[94:95], v[94:95], v[110:111]
	v_add_f64 v[92:93], v[92:93], v[116:117]
	s_mov_b32 s26, 0x5d8e7cdc
	s_mov_b32 s12, 0x2a9d6da3
	;; [unrolled: 1-line block ×8, first 2 shown]
	v_add_f64 v[94:95], v[94:95], v[118:119]
	v_add_f64 v[92:93], v[92:93], v[128:129]
	;; [unrolled: 1-line block ×3, first 2 shown]
	v_add_f64 v[134:135], v[134:135], -v[138:139]
	s_mov_b32 s27, 0xbfd71e95
	s_mov_b32 s0, 0x370991
	;; [unrolled: 1-line block ×16, first 2 shown]
	v_add_f64 v[94:95], v[94:95], v[130:131]
	v_add_f64 v[92:93], v[92:93], v[136:137]
	;; [unrolled: 1-line block ×3, first 2 shown]
	v_add_f64 v[132:133], v[132:133], -v[136:137]
	v_mul_f64 v[136:137], v[134:135], s[26:27]
	s_mov_b32 s1, 0x3fedd6d0
	v_mul_f64 v[148:149], v[134:135], s[12:13]
	s_mov_b32 s3, 0x3fe7a5f6
	v_mul_f64 v[156:157], v[134:135], s[34:35]
	s_mov_b32 s17, 0x3fdc86fa
	v_mul_f64 v[164:165], v[134:135], s[20:21]
	s_mov_b32 s19, 0x3fb79ee6
	v_mul_f64 v[172:173], v[134:135], s[40:41]
	s_mov_b32 s23, 0xbfd183b1
	v_mul_f64 v[180:181], v[134:135], s[28:29]
	s_mov_b32 s25, 0xbfe348c8
	v_mul_f64 v[188:189], v[134:135], s[42:43]
	s_mov_b32 s31, 0xbfeb34fa
	v_mul_f64 v[134:135], v[134:135], s[38:39]
	s_mov_b32 s37, 0xbfef7484
	v_add_f64 v[94:95], v[94:95], v[138:139]
	v_fma_f64 v[138:139], v[140:141], s[0:1], -v[136:137]
	v_mov_b32_e32 v238, v144
	v_mul_f64 v[144:145], v[132:133], s[26:27]
	v_fmac_f64_e32 v[136:137], s[0:1], v[140:141]
	v_fma_f64 v[150:151], v[140:141], s[2:3], -v[148:149]
	v_mul_f64 v[152:153], v[132:133], s[12:13]
	v_fmac_f64_e32 v[148:149], s[2:3], v[140:141]
	v_fma_f64 v[158:159], v[140:141], s[16:17], -v[156:157]
	;; [unrolled: 3-line block ×7, first 2 shown]
	v_mul_f64 v[132:133], v[132:133], s[38:39]
	v_fmac_f64_e32 v[134:135], s[36:37], v[140:141]
	v_add_f64 v[138:139], v[124:125], v[138:139]
	v_fma_f64 v[146:147], s[0:1], v[142:143], v[144:145]
	v_add_f64 v[136:137], v[124:125], v[136:137]
	v_fma_f64 v[144:145], v[142:143], s[0:1], -v[144:145]
	v_add_f64 v[150:151], v[124:125], v[150:151]
	v_fma_f64 v[154:155], s[2:3], v[142:143], v[152:153]
	v_add_f64 v[148:149], v[124:125], v[148:149]
	v_fma_f64 v[152:153], v[142:143], s[2:3], -v[152:153]
	;; [unrolled: 4-line block ×8, first 2 shown]
	v_add_f64 v[134:135], v[122:123], v[130:131]
	v_add_f64 v[122:123], v[122:123], -v[130:131]
	v_add_f64 v[146:147], v[126:127], v[146:147]
	v_add_f64 v[144:145], v[126:127], v[144:145]
	;; [unrolled: 1-line block ×17, first 2 shown]
	v_add_f64 v[120:121], v[120:121], -v[128:129]
	v_mul_f64 v[128:129], v[122:123], s[12:13]
	v_fma_f64 v[130:131], v[132:133], s[2:3], -v[128:129]
	v_add_f64 v[130:131], v[130:131], v[138:139]
	v_mul_f64 v[138:139], v[120:121], s[12:13]
	v_fmac_f64_e32 v[128:129], s[2:3], v[132:133]
	v_fma_f64 v[140:141], s[2:3], v[134:135], v[138:139]
	v_add_f64 v[128:129], v[128:129], v[136:137]
	v_fma_f64 v[136:137], v[134:135], s[2:3], -v[138:139]
	v_mul_f64 v[138:139], v[122:123], s[20:21]
	v_add_f64 v[136:137], v[136:137], v[144:145]
	v_fma_f64 v[142:143], v[132:133], s[18:19], -v[138:139]
	v_mul_f64 v[144:145], v[120:121], s[20:21]
	v_fmac_f64_e32 v[138:139], s[18:19], v[132:133]
	v_add_f64 v[140:141], v[140:141], v[146:147]
	v_fma_f64 v[146:147], s[18:19], v[134:135], v[144:145]
	v_add_f64 v[138:139], v[138:139], v[148:149]
	v_fma_f64 v[144:145], v[134:135], s[18:19], -v[144:145]
	v_mul_f64 v[148:149], v[122:123], s[28:29]
	v_add_f64 v[142:143], v[142:143], v[150:151]
	v_add_f64 v[144:145], v[144:145], v[152:153]
	v_fma_f64 v[150:151], v[132:133], s[24:25], -v[148:149]
	v_mul_f64 v[152:153], v[120:121], s[28:29]
	v_fmac_f64_e32 v[148:149], s[24:25], v[132:133]
	v_add_f64 v[146:147], v[146:147], v[154:155]
	v_fma_f64 v[154:155], s[24:25], v[134:135], v[152:153]
	v_add_f64 v[148:149], v[148:149], v[156:157]
	v_fma_f64 v[152:153], v[134:135], s[24:25], -v[152:153]
	v_mul_f64 v[156:157], v[122:123], s[38:39]
	v_add_f64 v[150:151], v[150:151], v[158:159]
	v_add_f64 v[152:153], v[152:153], v[160:161]
	v_fma_f64 v[158:159], v[132:133], s[36:37], -v[156:157]
	v_mul_f64 v[160:161], v[120:121], s[38:39]
	v_fmac_f64_e32 v[156:157], s[36:37], v[132:133]
	s_mov_b32 s45, 0x3fe0d888
	s_mov_b32 s44, s42
	v_add_f64 v[154:155], v[154:155], v[162:163]
	v_fma_f64 v[162:163], s[36:37], v[134:135], v[160:161]
	v_add_f64 v[156:157], v[156:157], v[164:165]
	v_fma_f64 v[160:161], v[134:135], s[36:37], -v[160:161]
	v_mul_f64 v[164:165], v[122:123], s[44:45]
	v_add_f64 v[158:159], v[158:159], v[166:167]
	v_add_f64 v[160:161], v[160:161], v[168:169]
	v_fma_f64 v[166:167], v[132:133], s[30:31], -v[164:165]
	v_mul_f64 v[168:169], v[120:121], s[44:45]
	v_fmac_f64_e32 v[164:165], s[30:31], v[132:133]
	s_mov_b32 s47, 0x3feec746
	s_mov_b32 s46, s40
	;; [unrolled: 12-line block ×3, first 2 shown]
	v_add_f64 v[170:171], v[170:171], v[178:179]
	v_fma_f64 v[178:179], s[22:23], v[134:135], v[176:177]
	v_add_f64 v[172:173], v[172:173], v[180:181]
	v_fma_f64 v[176:177], v[134:135], s[22:23], -v[176:177]
	v_mul_f64 v[180:181], v[122:123], s[48:49]
	s_mov_b32 s51, 0x3fd71e95
	s_mov_b32 s50, s26
	v_add_f64 v[174:175], v[174:175], v[182:183]
	v_add_f64 v[176:177], v[176:177], v[184:185]
	v_fma_f64 v[182:183], v[132:133], s[16:17], -v[180:181]
	v_mul_f64 v[184:185], v[120:121], s[48:49]
	v_mul_f64 v[120:121], v[120:121], s[50:51]
	v_add_f64 v[182:183], v[182:183], v[190:191]
	v_fmac_f64_e32 v[180:181], s[16:17], v[132:133]
	v_mul_f64 v[122:123], v[122:123], s[50:51]
	v_fma_f64 v[190:191], s[0:1], v[134:135], v[120:121]
	v_fma_f64 v[120:121], v[134:135], s[0:1], -v[120:121]
	v_add_f64 v[180:181], v[180:181], v[188:189]
	v_fma_f64 v[188:189], v[132:133], s[0:1], -v[122:123]
	v_fmac_f64_e32 v[122:123], s[0:1], v[132:133]
	v_add_f64 v[120:121], v[120:121], v[126:127]
	v_add_f64 v[126:127], v[114:115], v[118:119]
	v_add_f64 v[114:115], v[114:115], -v[118:119]
	v_add_f64 v[122:123], v[122:123], v[124:125]
	v_add_f64 v[124:125], v[112:113], v[116:117]
	v_add_f64 v[112:113], v[112:113], -v[116:117]
	v_mul_f64 v[116:117], v[114:115], s[34:35]
	v_fma_f64 v[118:119], v[124:125], s[16:17], -v[116:117]
	v_add_f64 v[118:119], v[118:119], v[130:131]
	v_mul_f64 v[130:131], v[112:113], s[34:35]
	v_fmac_f64_e32 v[116:117], s[16:17], v[124:125]
	v_fma_f64 v[132:133], s[16:17], v[126:127], v[130:131]
	v_add_f64 v[116:117], v[116:117], v[128:129]
	v_fma_f64 v[128:129], v[126:127], s[16:17], -v[130:131]
	v_mul_f64 v[130:131], v[114:115], s[28:29]
	v_add_f64 v[178:179], v[178:179], v[186:187]
	v_fma_f64 v[186:187], s[16:17], v[134:135], v[184:185]
	v_fma_f64 v[184:185], v[134:135], s[16:17], -v[184:185]
	v_fma_f64 v[134:135], v[124:125], s[24:25], -v[130:131]
	v_fmac_f64_e32 v[130:131], s[24:25], v[124:125]
	s_mov_b32 s53, 0x3fc7851a
	s_mov_b32 s52, s38
	v_add_f64 v[128:129], v[128:129], v[136:137]
	v_mul_f64 v[136:137], v[112:113], s[28:29]
	v_add_f64 v[130:131], v[130:131], v[138:139]
	v_mul_f64 v[138:139], v[114:115], s[52:53]
	v_add_f64 v[132:133], v[132:133], v[140:141]
	v_add_f64 v[134:135], v[134:135], v[142:143]
	v_fma_f64 v[140:141], s[24:25], v[126:127], v[136:137]
	v_fma_f64 v[136:137], v[126:127], s[24:25], -v[136:137]
	v_fma_f64 v[142:143], v[124:125], s[36:37], -v[138:139]
	v_fmac_f64_e32 v[138:139], s[36:37], v[124:125]
	v_add_f64 v[136:137], v[136:137], v[144:145]
	v_mul_f64 v[144:145], v[112:113], s[52:53]
	v_add_f64 v[138:139], v[138:139], v[148:149]
	v_mul_f64 v[148:149], v[114:115], s[46:47]
	v_add_f64 v[140:141], v[140:141], v[146:147]
	v_add_f64 v[142:143], v[142:143], v[150:151]
	v_fma_f64 v[146:147], s[36:37], v[126:127], v[144:145]
	v_fma_f64 v[144:145], v[126:127], s[36:37], -v[144:145]
	v_fma_f64 v[150:151], v[124:125], s[22:23], -v[148:149]
	v_fmac_f64_e32 v[148:149], s[22:23], v[124:125]
	s_mov_b32 s55, 0x3fe58eea
	s_mov_b32 s54, s12
	v_add_f64 v[144:145], v[144:145], v[152:153]
	v_mul_f64 v[152:153], v[112:113], s[46:47]
	v_add_f64 v[148:149], v[148:149], v[156:157]
	v_mul_f64 v[156:157], v[114:115], s[54:55]
	v_add_f64 v[146:147], v[146:147], v[154:155]
	v_add_f64 v[150:151], v[150:151], v[158:159]
	v_fma_f64 v[154:155], s[22:23], v[126:127], v[152:153]
	v_fma_f64 v[152:153], v[126:127], s[22:23], -v[152:153]
	v_fma_f64 v[158:159], v[124:125], s[2:3], -v[156:157]
	v_fmac_f64_e32 v[156:157], s[2:3], v[124:125]
	v_add_f64 v[152:153], v[152:153], v[160:161]
	v_mul_f64 v[160:161], v[112:113], s[54:55]
	v_add_f64 v[156:157], v[156:157], v[164:165]
	v_mul_f64 v[164:165], v[114:115], s[26:27]
	v_add_f64 v[154:155], v[154:155], v[162:163]
	v_add_f64 v[158:159], v[158:159], v[166:167]
	v_fma_f64 v[162:163], s[2:3], v[126:127], v[160:161]
	v_fma_f64 v[160:161], v[126:127], s[2:3], -v[160:161]
	v_fma_f64 v[166:167], v[124:125], s[0:1], -v[164:165]
	v_fmac_f64_e32 v[164:165], s[0:1], v[124:125]
	v_add_f64 v[160:161], v[160:161], v[168:169]
	v_mul_f64 v[168:169], v[112:113], s[26:27]
	v_add_f64 v[164:165], v[164:165], v[172:173]
	v_mul_f64 v[172:173], v[114:115], s[20:21]
	v_add_f64 v[162:163], v[162:163], v[170:171]
	v_add_f64 v[166:167], v[166:167], v[174:175]
	v_fma_f64 v[170:171], s[0:1], v[126:127], v[168:169]
	v_fma_f64 v[168:169], v[126:127], s[0:1], -v[168:169]
	v_fma_f64 v[174:175], v[124:125], s[18:19], -v[172:173]
	v_fmac_f64_e32 v[172:173], s[18:19], v[124:125]
	v_mul_f64 v[114:115], v[114:115], s[42:43]
	v_add_f64 v[168:169], v[168:169], v[176:177]
	v_mul_f64 v[176:177], v[112:113], s[20:21]
	v_add_f64 v[172:173], v[172:173], v[180:181]
	v_fma_f64 v[180:181], v[124:125], s[30:31], -v[114:115]
	v_mul_f64 v[112:113], v[112:113], s[42:43]
	v_fmac_f64_e32 v[114:115], s[30:31], v[124:125]
	v_add_f64 v[174:175], v[174:175], v[182:183]
	v_fma_f64 v[182:183], s[30:31], v[126:127], v[112:113]
	v_add_f64 v[114:115], v[114:115], v[122:123]
	v_fma_f64 v[112:113], v[126:127], s[30:31], -v[112:113]
	v_add_f64 v[122:123], v[106:107], v[110:111]
	v_add_f64 v[106:107], v[106:107], -v[110:111]
	v_add_f64 v[112:113], v[112:113], v[120:121]
	v_add_f64 v[120:121], v[104:105], v[108:109]
	v_add_f64 v[104:105], v[104:105], -v[108:109]
	v_mul_f64 v[108:109], v[106:107], s[20:21]
	v_fma_f64 v[110:111], v[120:121], s[18:19], -v[108:109]
	v_add_f64 v[110:111], v[110:111], v[118:119]
	v_mul_f64 v[118:119], v[104:105], s[20:21]
	v_fmac_f64_e32 v[108:109], s[18:19], v[120:121]
	v_fma_f64 v[124:125], s[18:19], v[122:123], v[118:119]
	v_add_f64 v[108:109], v[108:109], v[116:117]
	v_fma_f64 v[116:117], v[122:123], s[18:19], -v[118:119]
	v_mul_f64 v[118:119], v[106:107], s[38:39]
	v_add_f64 v[170:171], v[170:171], v[178:179]
	v_fma_f64 v[178:179], s[18:19], v[126:127], v[176:177]
	v_fma_f64 v[176:177], v[126:127], s[18:19], -v[176:177]
	v_fma_f64 v[126:127], v[120:121], s[36:37], -v[118:119]
	v_fmac_f64_e32 v[118:119], s[36:37], v[120:121]
	v_add_f64 v[116:117], v[116:117], v[128:129]
	v_mul_f64 v[128:129], v[104:105], s[38:39]
	v_add_f64 v[118:119], v[118:119], v[130:131]
	v_mul_f64 v[130:131], v[106:107], s[46:47]
	v_add_f64 v[124:125], v[124:125], v[132:133]
	v_add_f64 v[126:127], v[126:127], v[134:135]
	v_fma_f64 v[132:133], s[36:37], v[122:123], v[128:129]
	v_fma_f64 v[128:129], v[122:123], s[36:37], -v[128:129]
	v_fma_f64 v[134:135], v[120:121], s[22:23], -v[130:131]
	v_fmac_f64_e32 v[130:131], s[22:23], v[120:121]
	v_add_f64 v[128:129], v[128:129], v[136:137]
	v_mul_f64 v[136:137], v[104:105], s[46:47]
	v_add_f64 v[130:131], v[130:131], v[138:139]
	v_mul_f64 v[138:139], v[106:107], s[50:51]
	v_add_f64 v[132:133], v[132:133], v[140:141]
	;; [unrolled: 10-line block ×4, first 2 shown]
	v_add_f64 v[150:151], v[150:151], v[158:159]
	v_fma_f64 v[154:155], s[16:17], v[122:123], v[152:153]
	v_fma_f64 v[152:153], v[122:123], s[16:17], -v[152:153]
	v_fma_f64 v[158:159], v[120:121], s[30:31], -v[156:157]
	v_fmac_f64_e32 v[156:157], s[30:31], v[120:121]
	s_mov_b32 s57, 0x3fe9895b
	s_mov_b32 s56, s28
	v_add_f64 v[152:153], v[152:153], v[160:161]
	v_mul_f64 v[160:161], v[104:105], s[42:43]
	v_add_f64 v[156:157], v[156:157], v[164:165]
	v_mul_f64 v[164:165], v[106:107], s[56:57]
	v_add_f64 v[154:155], v[154:155], v[162:163]
	v_add_f64 v[158:159], v[158:159], v[166:167]
	v_fma_f64 v[162:163], s[30:31], v[122:123], v[160:161]
	v_fma_f64 v[160:161], v[122:123], s[30:31], -v[160:161]
	v_fma_f64 v[166:167], v[120:121], s[24:25], -v[164:165]
	v_fmac_f64_e32 v[164:165], s[24:25], v[120:121]
	v_mul_f64 v[106:107], v[106:107], s[54:55]
	v_add_f64 v[160:161], v[160:161], v[168:169]
	v_mul_f64 v[168:169], v[104:105], s[56:57]
	v_add_f64 v[164:165], v[164:165], v[172:173]
	v_fma_f64 v[172:173], v[120:121], s[2:3], -v[106:107]
	v_mul_f64 v[104:105], v[104:105], s[54:55]
	v_fmac_f64_e32 v[106:107], s[2:3], v[120:121]
	v_add_f64 v[166:167], v[166:167], v[174:175]
	v_fma_f64 v[174:175], s[2:3], v[122:123], v[104:105]
	v_add_f64 v[106:107], v[106:107], v[114:115]
	v_fma_f64 v[104:105], v[122:123], s[2:3], -v[104:105]
	v_add_f64 v[114:115], v[98:99], v[102:103]
	v_add_f64 v[98:99], v[98:99], -v[102:103]
	v_add_f64 v[104:105], v[104:105], v[112:113]
	v_add_f64 v[112:113], v[96:97], v[100:101]
	v_add_f64 v[96:97], v[96:97], -v[100:101]
	v_mul_f64 v[100:101], v[98:99], s[40:41]
	v_fma_f64 v[102:103], v[112:113], s[22:23], -v[100:101]
	v_add_f64 v[102:103], v[102:103], v[110:111]
	v_mul_f64 v[110:111], v[96:97], s[40:41]
	v_fmac_f64_e32 v[100:101], s[22:23], v[112:113]
	v_fma_f64 v[120:121], s[22:23], v[114:115], v[110:111]
	v_add_f64 v[100:101], v[100:101], v[108:109]
	v_fma_f64 v[108:109], v[114:115], s[22:23], -v[110:111]
	v_mul_f64 v[110:111], v[98:99], s[44:45]
	v_add_f64 v[162:163], v[162:163], v[170:171]
	v_fma_f64 v[170:171], s[24:25], v[122:123], v[168:169]
	v_fma_f64 v[168:169], v[122:123], s[24:25], -v[168:169]
	v_add_f64 v[108:109], v[108:109], v[116:117]
	v_fma_f64 v[116:117], v[112:113], s[30:31], -v[110:111]
	v_mul_f64 v[122:123], v[96:97], s[44:45]
	v_fmac_f64_e32 v[110:111], s[30:31], v[112:113]
	v_add_f64 v[120:121], v[120:121], v[124:125]
	v_fma_f64 v[124:125], s[30:31], v[114:115], v[122:123]
	v_add_f64 v[110:111], v[110:111], v[118:119]
	v_fma_f64 v[118:119], v[114:115], s[30:31], -v[122:123]
	v_mul_f64 v[122:123], v[98:99], s[54:55]
	v_add_f64 v[116:117], v[116:117], v[126:127]
	v_fma_f64 v[126:127], v[112:113], s[2:3], -v[122:123]
	v_fmac_f64_e32 v[122:123], s[2:3], v[112:113]
	v_add_f64 v[118:119], v[118:119], v[128:129]
	v_mul_f64 v[128:129], v[96:97], s[54:55]
	v_add_f64 v[122:123], v[122:123], v[130:131]
	v_mul_f64 v[130:131], v[98:99], s[34:35]
	v_add_f64 v[124:125], v[124:125], v[132:133]
	v_add_f64 v[126:127], v[126:127], v[134:135]
	v_fma_f64 v[132:133], s[2:3], v[114:115], v[128:129]
	v_fma_f64 v[128:129], v[114:115], s[2:3], -v[128:129]
	v_fma_f64 v[134:135], v[112:113], s[16:17], -v[130:131]
	v_fmac_f64_e32 v[130:131], s[16:17], v[112:113]
	v_add_f64 v[128:129], v[128:129], v[136:137]
	v_mul_f64 v[136:137], v[96:97], s[34:35]
	v_add_f64 v[130:131], v[130:131], v[138:139]
	v_mul_f64 v[138:139], v[98:99], s[38:39]
	v_add_f64 v[132:133], v[132:133], v[140:141]
	v_add_f64 v[134:135], v[134:135], v[142:143]
	v_fma_f64 v[140:141], s[16:17], v[114:115], v[136:137]
	v_fma_f64 v[136:137], v[114:115], s[16:17], -v[136:137]
	v_fma_f64 v[142:143], v[112:113], s[36:37], -v[138:139]
	v_fmac_f64_e32 v[138:139], s[36:37], v[112:113]
	s_mov_b32 s59, 0x3fefdd0d
	s_mov_b32 s58, s20
	v_add_f64 v[136:137], v[136:137], v[144:145]
	v_mul_f64 v[144:145], v[96:97], s[38:39]
	v_add_f64 v[138:139], v[138:139], v[148:149]
	v_mul_f64 v[148:149], v[98:99], s[58:59]
	v_add_f64 v[140:141], v[140:141], v[146:147]
	v_add_f64 v[142:143], v[142:143], v[150:151]
	v_fma_f64 v[146:147], s[36:37], v[114:115], v[144:145]
	v_fma_f64 v[144:145], v[114:115], s[36:37], -v[144:145]
	v_fma_f64 v[150:151], v[112:113], s[18:19], -v[148:149]
	v_fmac_f64_e32 v[148:149], s[18:19], v[112:113]
	v_add_f64 v[144:145], v[144:145], v[152:153]
	v_mul_f64 v[152:153], v[96:97], s[58:59]
	v_add_f64 v[148:149], v[148:149], v[156:157]
	v_mul_f64 v[156:157], v[98:99], s[26:27]
	v_add_f64 v[146:147], v[146:147], v[154:155]
	v_add_f64 v[150:151], v[150:151], v[158:159]
	v_fma_f64 v[154:155], s[18:19], v[114:115], v[152:153]
	v_fma_f64 v[152:153], v[114:115], s[18:19], -v[152:153]
	v_fma_f64 v[158:159], v[112:113], s[0:1], -v[156:157]
	v_fmac_f64_e32 v[156:157], s[0:1], v[112:113]
	v_mul_f64 v[98:99], v[98:99], s[28:29]
	v_add_f64 v[152:153], v[152:153], v[160:161]
	v_mul_f64 v[160:161], v[96:97], s[26:27]
	v_add_f64 v[156:157], v[156:157], v[164:165]
	v_fma_f64 v[164:165], v[112:113], s[24:25], -v[98:99]
	v_mul_f64 v[96:97], v[96:97], s[28:29]
	v_fmac_f64_e32 v[98:99], s[24:25], v[112:113]
	v_add_f64 v[158:159], v[158:159], v[166:167]
	v_fma_f64 v[166:167], s[24:25], v[114:115], v[96:97]
	v_add_f64 v[98:99], v[98:99], v[106:107]
	v_fma_f64 v[96:97], v[114:115], s[24:25], -v[96:97]
	v_add_f64 v[106:107], v[86:87], v[90:91]
	v_add_f64 v[86:87], v[86:87], -v[90:91]
	v_add_f64 v[96:97], v[96:97], v[104:105]
	v_add_f64 v[104:105], v[84:85], v[88:89]
	v_add_f64 v[84:85], v[84:85], -v[88:89]
	v_mul_f64 v[88:89], v[86:87], s[28:29]
	v_fma_f64 v[90:91], v[104:105], s[24:25], -v[88:89]
	v_add_f64 v[90:91], v[90:91], v[102:103]
	v_mul_f64 v[102:103], v[84:85], s[28:29]
	v_fmac_f64_e32 v[88:89], s[24:25], v[104:105]
	v_fma_f64 v[112:113], s[24:25], v[106:107], v[102:103]
	v_add_f64 v[88:89], v[88:89], v[100:101]
	v_fma_f64 v[100:101], v[106:107], s[24:25], -v[102:103]
	v_mul_f64 v[102:103], v[86:87], s[46:47]
	v_add_f64 v[154:155], v[154:155], v[162:163]
	v_fma_f64 v[162:163], s[0:1], v[114:115], v[160:161]
	v_fma_f64 v[160:161], v[114:115], s[0:1], -v[160:161]
	v_add_f64 v[100:101], v[100:101], v[108:109]
	v_fma_f64 v[108:109], v[104:105], s[22:23], -v[102:103]
	v_mul_f64 v[114:115], v[84:85], s[46:47]
	v_fmac_f64_e32 v[102:103], s[22:23], v[104:105]
	v_add_f64 v[108:109], v[108:109], v[116:117]
	v_fma_f64 v[116:117], s[22:23], v[106:107], v[114:115]
	v_add_f64 v[102:103], v[102:103], v[110:111]
	v_fma_f64 v[110:111], v[106:107], s[22:23], -v[114:115]
	v_mul_f64 v[114:115], v[86:87], s[26:27]
	v_add_f64 v[110:111], v[110:111], v[118:119]
	v_fma_f64 v[118:119], v[104:105], s[0:1], -v[114:115]
	v_fmac_f64_e32 v[114:115], s[0:1], v[104:105]
	v_add_f64 v[112:113], v[112:113], v[120:121]
	v_mul_f64 v[120:121], v[84:85], s[26:27]
	v_add_f64 v[114:115], v[114:115], v[122:123]
	v_mul_f64 v[122:123], v[86:87], s[42:43]
	v_add_f64 v[116:117], v[116:117], v[124:125]
	v_add_f64 v[118:119], v[118:119], v[126:127]
	v_fma_f64 v[124:125], s[0:1], v[106:107], v[120:121]
	v_fma_f64 v[120:121], v[106:107], s[0:1], -v[120:121]
	v_fma_f64 v[126:127], v[104:105], s[30:31], -v[122:123]
	v_fmac_f64_e32 v[122:123], s[30:31], v[104:105]
	v_add_f64 v[120:121], v[120:121], v[128:129]
	v_mul_f64 v[128:129], v[84:85], s[42:43]
	v_add_f64 v[122:123], v[122:123], v[130:131]
	v_mul_f64 v[130:131], v[86:87], s[58:59]
	v_add_f64 v[124:125], v[124:125], v[132:133]
	v_add_f64 v[126:127], v[126:127], v[134:135]
	v_fma_f64 v[132:133], s[30:31], v[106:107], v[128:129]
	v_fma_f64 v[128:129], v[106:107], s[30:31], -v[128:129]
	;; [unrolled: 10-line block ×4, first 2 shown]
	v_fma_f64 v[150:151], v[104:105], s[36:37], -v[148:149]
	v_fmac_f64_e32 v[148:149], s[36:37], v[104:105]
	v_mul_f64 v[86:87], v[86:87], s[48:49]
	v_add_f64 v[144:145], v[144:145], v[152:153]
	v_mul_f64 v[152:153], v[84:85], s[38:39]
	v_add_f64 v[148:149], v[148:149], v[156:157]
	v_fma_f64 v[156:157], v[104:105], s[16:17], -v[86:87]
	v_mul_f64 v[84:85], v[84:85], s[48:49]
	v_fmac_f64_e32 v[86:87], s[16:17], v[104:105]
	v_add_f64 v[150:151], v[150:151], v[158:159]
	v_fma_f64 v[158:159], s[16:17], v[106:107], v[84:85]
	v_add_f64 v[86:87], v[86:87], v[98:99]
	v_fma_f64 v[84:85], v[106:107], s[16:17], -v[84:85]
	v_add_f64 v[98:99], v[78:79], v[82:83]
	v_add_f64 v[78:79], v[78:79], -v[82:83]
	v_add_f64 v[84:85], v[84:85], v[96:97]
	v_add_f64 v[96:97], v[76:77], v[80:81]
	v_add_f64 v[76:77], v[76:77], -v[80:81]
	v_mul_f64 v[80:81], v[78:79], s[42:43]
	v_fma_f64 v[82:83], v[96:97], s[30:31], -v[80:81]
	v_add_f64 v[82:83], v[82:83], v[90:91]
	v_mul_f64 v[90:91], v[76:77], s[42:43]
	v_fmac_f64_e32 v[80:81], s[30:31], v[96:97]
	v_add_f64 v[88:89], v[80:81], v[88:89]
	v_fma_f64 v[80:81], v[98:99], s[30:31], -v[90:91]
	v_fma_f64 v[104:105], s[30:31], v[98:99], v[90:91]
	v_add_f64 v[90:91], v[80:81], v[100:101]
	v_mul_f64 v[80:81], v[78:79], s[48:49]
	v_add_f64 v[146:147], v[146:147], v[154:155]
	v_fma_f64 v[154:155], s[36:37], v[106:107], v[152:153]
	v_fma_f64 v[152:153], v[106:107], s[36:37], -v[152:153]
	v_fma_f64 v[100:101], v[96:97], s[16:17], -v[80:81]
	v_mul_f64 v[106:107], v[76:77], s[48:49]
	v_fmac_f64_e32 v[80:81], s[16:17], v[96:97]
	v_add_f64 v[102:103], v[80:81], v[102:103]
	v_fma_f64 v[80:81], v[98:99], s[16:17], -v[106:107]
	v_add_f64 v[100:101], v[100:101], v[108:109]
	v_fma_f64 v[108:109], s[16:17], v[98:99], v[106:107]
	v_add_f64 v[106:107], v[80:81], v[110:111]
	v_mul_f64 v[80:81], v[78:79], s[20:21]
	v_add_f64 v[104:105], v[104:105], v[112:113]
	v_fma_f64 v[110:111], v[96:97], s[18:19], -v[80:81]
	v_mul_f64 v[112:113], v[76:77], s[20:21]
	v_fmac_f64_e32 v[80:81], s[18:19], v[96:97]
	v_add_f64 v[114:115], v[80:81], v[114:115]
	v_fma_f64 v[80:81], v[98:99], s[18:19], -v[112:113]
	v_add_f64 v[108:109], v[108:109], v[116:117]
	v_fma_f64 v[116:117], s[18:19], v[98:99], v[112:113]
	v_add_f64 v[112:113], v[80:81], v[120:121]
	v_mul_f64 v[80:81], v[78:79], s[56:57]
	v_add_f64 v[110:111], v[110:111], v[118:119]
	;; [unrolled: 10-line block ×4, first 2 shown]
	v_add_f64 v[126:127], v[126:127], v[134:135]
	v_fma_f64 v[134:135], v[96:97], s[36:37], -v[80:81]
	v_mul_f64 v[136:137], v[76:77], s[38:39]
	v_fmac_f64_e32 v[80:81], s[36:37], v[96:97]
	v_add_f64 v[188:189], v[188:189], v[196:197]
	v_add_f64 v[176:177], v[176:177], v[184:185]
	;; [unrolled: 1-line block ×3, first 2 shown]
	v_fma_f64 v[80:81], v[98:99], s[36:37], -v[136:137]
	v_add_f64 v[190:191], v[190:191], v[198:199]
	v_add_f64 v[180:181], v[180:181], v[188:189]
	;; [unrolled: 1-line block ×4, first 2 shown]
	v_fma_f64 v[140:141], s[36:37], v[98:99], v[136:137]
	v_add_f64 v[136:137], v[80:81], v[144:145]
	v_mul_f64 v[80:81], v[78:79], s[54:55]
	v_add_f64 v[186:187], v[186:187], v[194:195]
	v_add_f64 v[182:183], v[182:183], v[190:191]
	;; [unrolled: 1-line block ×5, first 2 shown]
	v_fma_f64 v[142:143], v[96:97], s[2:3], -v[80:81]
	v_mul_f64 v[144:145], v[76:77], s[54:55]
	v_fmac_f64_e32 v[80:81], s[2:3], v[96:97]
	v_add_f64 v[178:179], v[178:179], v[186:187]
	v_add_f64 v[174:175], v[174:175], v[182:183]
	;; [unrolled: 1-line block ×5, first 2 shown]
	v_fma_f64 v[80:81], v[98:99], s[2:3], -v[144:145]
	v_mul_f64 v[78:79], v[78:79], s[40:41]
	v_add_f64 v[170:171], v[170:171], v[178:179]
	v_add_f64 v[166:167], v[166:167], v[174:175]
	;; [unrolled: 1-line block ×4, first 2 shown]
	v_fma_f64 v[146:147], s[2:3], v[98:99], v[144:145]
	v_add_f64 v[144:145], v[80:81], v[152:153]
	v_fma_f64 v[80:81], v[96:97], s[22:23], -v[78:79]
	v_mul_f64 v[76:77], v[76:77], s[40:41]
	v_add_f64 v[162:163], v[162:163], v[170:171]
	v_add_f64 v[158:159], v[158:159], v[166:167]
	;; [unrolled: 1-line block ×4, first 2 shown]
	v_fma_f64 v[80:81], s[22:23], v[98:99], v[76:77]
	v_add_f64 v[164:165], v[70:71], -v[74:75]
	v_add_f64 v[154:155], v[154:155], v[162:163]
	v_add_f64 v[152:153], v[80:81], v[158:159]
	;; [unrolled: 1-line block ×3, first 2 shown]
	v_add_f64 v[162:163], v[68:69], -v[72:73]
	v_mul_f64 v[68:69], v[164:165], s[38:39]
	v_add_f64 v[160:161], v[70:71], v[74:75]
	v_fma_f64 v[70:71], v[158:159], s[36:37], -v[68:69]
	v_add_f64 v[80:81], v[70:71], v[82:83]
	v_mul_f64 v[70:71], v[162:163], s[38:39]
	v_fma_f64 v[72:73], s[36:37], v[160:161], v[70:71]
	v_add_f64 v[82:83], v[72:73], v[104:105]
	v_mul_f64 v[72:73], v[164:165], s[50:51]
	v_fma_f64 v[76:77], v[98:99], s[22:23], -v[76:77]
	v_fma_f64 v[74:75], v[158:159], s[0:1], -v[72:73]
	v_add_f64 v[156:157], v[76:77], v[84:85]
	v_add_f64 v[84:85], v[74:75], v[100:101]
	v_mul_f64 v[74:75], v[162:163], s[50:51]
	v_fmac_f64_e32 v[78:79], s[22:23], v[96:97]
	v_fma_f64 v[76:77], s[0:1], v[160:161], v[74:75]
	v_add_f64 v[146:147], v[146:147], v[154:155]
	v_add_f64 v[154:155], v[78:79], v[86:87]
	;; [unrolled: 1-line block ×3, first 2 shown]
	v_mul_f64 v[76:77], v[164:165], s[42:43]
	v_fmac_f64_e32 v[68:69], s[36:37], v[158:159]
	v_fma_f64 v[78:79], v[158:159], s[30:31], -v[76:77]
	v_add_f64 v[68:69], v[68:69], v[88:89]
	v_fma_f64 v[70:71], v[160:161], s[36:37], -v[70:71]
	v_add_f64 v[88:89], v[78:79], v[110:111]
	v_mul_f64 v[78:79], v[162:163], s[42:43]
	v_add_f64 v[70:71], v[70:71], v[90:91]
	v_fma_f64 v[90:91], s[30:31], v[160:161], v[78:79]
	v_fma_f64 v[78:79], v[160:161], s[30:31], -v[78:79]
	v_fmac_f64_e32 v[76:77], s[30:31], v[158:159]
	v_add_f64 v[78:79], v[78:79], v[112:113]
	v_mul_f64 v[112:113], v[164:165], s[48:49]
	v_add_f64 v[76:77], v[76:77], v[114:115]
	v_fma_f64 v[114:115], v[158:159], s[16:17], -v[112:113]
	v_add_f64 v[208:209], v[114:115], v[134:135]
	v_mul_f64 v[114:115], v[162:163], s[48:49]
	v_fmac_f64_e32 v[112:113], s[16:17], v[158:159]
	v_add_f64 v[212:213], v[112:113], v[138:139]
	v_fma_f64 v[112:113], v[160:161], s[16:17], -v[114:115]
	v_add_f64 v[214:215], v[112:113], v[136:137]
	v_mul_f64 v[112:113], v[164:165], s[40:41]
	v_add_f64 v[90:91], v[90:91], v[116:117]
	v_fma_f64 v[116:117], s[16:17], v[160:161], v[114:115]
	v_fma_f64 v[114:115], v[158:159], s[22:23], -v[112:113]
	v_add_f64 v[216:217], v[114:115], v[142:143]
	v_mul_f64 v[114:115], v[162:163], s[40:41]
	v_fmac_f64_e32 v[112:113], s[22:23], v[158:159]
	v_add_f64 v[220:221], v[112:113], v[148:149]
	v_fma_f64 v[112:113], v[160:161], s[22:23], -v[114:115]
	v_add_f64 v[222:223], v[112:113], v[144:145]
	v_mul_f64 v[112:113], v[164:165], s[58:59]
	v_add_f64 v[210:211], v[116:117], v[140:141]
	v_fma_f64 v[116:117], s[22:23], v[160:161], v[114:115]
	v_fma_f64 v[114:115], v[158:159], s[18:19], -v[112:113]
	v_fma_f64 v[74:75], v[160:161], s[0:1], -v[74:75]
	v_mul_f64 v[100:101], v[164:165], s[54:55]
	v_mul_f64 v[110:111], v[162:163], s[28:29]
	v_add_f64 v[224:225], v[114:115], v[150:151]
	v_mul_f64 v[114:115], v[162:163], s[58:59]
	v_fmac_f64_e32 v[112:113], s[18:19], v[158:159]
	v_add_f64 v[74:75], v[74:75], v[106:107]
	v_fma_f64 v[96:97], v[158:159], s[2:3], -v[100:101]
	v_fmac_f64_e32 v[100:101], s[2:3], v[158:159]
	v_fma_f64 v[106:107], s[24:25], v[160:161], v[110:111]
	v_add_f64 v[228:229], v[112:113], v[154:155]
	v_fma_f64 v[112:113], v[160:161], s[18:19], -v[114:115]
	v_add_f64 v[174:175], v[6:7], -v[66:67]
	v_fmac_f64_e32 v[72:73], s[0:1], v[158:159]
	v_add_f64 v[100:101], v[100:101], v[122:123]
	v_add_f64 v[106:107], v[106:107], v[132:133]
	;; [unrolled: 1-line block ×3, first 2 shown]
	v_fma_f64 v[116:117], s[18:19], v[160:161], v[114:115]
	v_add_f64 v[230:231], v[112:113], v[156:157]
	v_add_f64 v[122:123], v[4:5], v[64:65]
	v_add_f64 v[132:133], v[4:5], -v[64:65]
	v_mul_f64 v[112:113], v[174:175], s[26:27]
	v_add_f64 v[72:73], v[72:73], v[102:103]
	v_mul_f64 v[102:103], v[162:163], s[54:55]
	v_add_f64 v[226:227], v[116:117], v[152:153]
	v_add_f64 v[194:195], v[6:7], v[66:67]
	v_mul_f64 v[116:117], v[132:133], s[26:27]
	v_fma_f64 v[114:115], s[0:1], v[122:123], v[112:113]
	v_add_f64 v[96:97], v[96:97], v[118:119]
	v_fma_f64 v[98:99], s[2:3], v[160:161], v[102:103]
	v_mul_f64 v[108:109], v[164:165], s[28:29]
	v_fma_f64 v[110:111], v[160:161], s[24:25], -v[110:111]
	v_add_f64 v[118:119], v[0:1], v[114:115]
	v_fma_f64 v[114:115], v[194:195], s[0:1], -v[116:117]
	v_add_f64 v[182:183], v[10:11], -v[62:63]
	v_add_f64 v[98:99], v[98:99], v[124:125]
	v_fma_f64 v[102:103], v[160:161], s[2:3], -v[102:103]
	v_fma_f64 v[104:105], v[158:159], s[24:25], -v[108:109]
	v_add_f64 v[110:111], v[110:111], v[128:129]
	v_add_f64 v[124:125], v[2:3], v[114:115]
	;; [unrolled: 1-line block ×3, first 2 shown]
	v_add_f64 v[142:143], v[8:9], -v[60:61]
	v_mul_f64 v[114:115], v[182:183], s[12:13]
	v_add_f64 v[102:103], v[102:103], v[120:121]
	v_add_f64 v[104:105], v[104:105], v[126:127]
	v_fmac_f64_e32 v[108:109], s[24:25], v[158:159]
	v_add_f64 v[164:165], v[10:11], v[62:63]
	v_mul_f64 v[120:121], v[142:143], s[12:13]
	v_fma_f64 v[126:127], s[2:3], v[128:129], v[114:115]
	v_add_f64 v[108:109], v[108:109], v[130:131]
	v_add_f64 v[130:131], v[126:127], v[118:119]
	v_fma_f64 v[118:119], v[164:165], s[2:3], -v[120:121]
	v_add_f64 v[190:191], v[14:15], -v[58:59]
	v_add_f64 v[124:125], v[118:119], v[124:125]
	v_add_f64 v[136:137], v[12:13], v[56:57]
	v_add_f64 v[150:151], v[12:13], -v[56:57]
	v_mul_f64 v[118:119], v[190:191], s[34:35]
	v_add_f64 v[170:171], v[14:15], v[58:59]
	v_mul_f64 v[126:127], v[150:151], s[34:35]
	v_fma_f64 v[134:135], s[16:17], v[136:137], v[118:119]
	v_add_f64 v[130:131], v[134:135], v[130:131]
	v_fma_f64 v[134:135], v[170:171], s[16:17], -v[126:127]
	v_add_f64 v[196:197], v[18:19], -v[54:55]
	v_add_f64 v[138:139], v[134:135], v[124:125]
	v_add_f64 v[144:145], v[16:17], v[52:53]
	v_add_f64 v[160:161], v[16:17], -v[52:53]
	v_mul_f64 v[124:125], v[196:197], s[20:21]
	v_add_f64 v[172:173], v[18:19], v[54:55]
	v_mul_f64 v[134:135], v[160:161], s[20:21]
	v_fma_f64 v[140:141], s[18:19], v[144:145], v[124:125]
	;; [unrolled: 10-line block ×6, first 2 shown]
	v_add_f64 v[240:241], v[236:237], v[232:233]
	v_fma_f64 v[232:233], v[188:189], s[36:37], -v[162:163]
	v_add_f64 v[242:243], v[232:233], v[234:235]
	v_accvgpr_write_b32 a76, v240
	v_mul_lo_u16_e32 v232, 17, v238
	v_accvgpr_write_b32 a77, v241
	v_accvgpr_write_b32 a78, v242
	;; [unrolled: 1-line block ×4, first 2 shown]
	v_lshlrev_b32_e32 v249, 4, v232
	s_waitcnt lgkmcnt(0)
	; wave barrier
	ds_write_b128 v249, v[92:95]
	ds_write_b128 v249, v[80:83] offset:16
	ds_write_b128 v249, v[84:87] offset:32
	;; [unrolled: 1-line block ×16, first 2 shown]
	s_and_saveexec_b64 s[60:61], vcc
	s_cbranch_execz .LBB0_7
; %bb.6:
	v_mul_f64 v[96:97], v[194:195], s[36:37]
	v_mul_f64 v[92:93], v[164:165], s[0:1]
	v_fma_f64 v[98:99], s[52:53], v[132:133], v[96:97]
	v_mul_f64 v[210:211], v[174:175], s[38:39]
	v_mul_f64 v[88:89], v[170:171], s[30:31]
	v_fma_f64 v[94:95], s[26:27], v[142:143], v[92:93]
	v_add_f64 v[98:99], v[2:3], v[98:99]
	v_mul_f64 v[110:111], v[182:183], s[50:51]
	v_fma_f64 v[212:213], s[36:37], v[122:123], v[210:211]
	v_mul_f64 v[84:85], v[172:173], s[2:3]
	v_fma_f64 v[90:91], s[44:45], v[150:151], v[88:89]
	v_add_f64 v[94:95], v[94:95], v[98:99]
	v_mul_f64 v[106:107], v[190:191], s[42:43]
	v_fma_f64 v[208:209], s[0:1], v[128:129], v[110:111]
	v_add_f64 v[212:213], v[0:1], v[212:213]
	;; [unrolled: 3-line block ×10, first 2 shown]
	v_fma_f64 v[68:69], s[20:21], v[198:199], v[72:73]
	v_add_f64 v[70:71], v[70:71], v[78:79]
	v_mul_f64 v[78:79], v[206:207], s[58:59]
	v_fma_f64 v[86:87], s[22:23], v[166:167], v[82:83]
	v_add_f64 v[94:95], v[94:95], v[100:101]
	v_add_f64 v[70:71], v[68:69], v[70:71]
	v_fma_f64 v[68:69], s[18:19], v[178:179], v[78:79]
	v_add_f64 v[86:87], v[86:87], v[94:95]
	v_fmac_f64_e32 v[96:97], s[38:39], v[132:133]
	v_add_f64 v[68:69], v[68:69], v[86:87]
	v_fmac_f64_e32 v[92:93], s[50:51], v[142:143]
	;; [unrolled: 2-line block ×6, first 2 shown]
	v_add_f64 v[80:81], v[80:81], v[84:85]
	v_fma_f64 v[88:89], v[122:123], s[36:37], -v[210:211]
	v_mul_f64 v[104:105], v[194:195], s[30:31]
	v_fmac_f64_e32 v[74:75], s[40:41], v[192:193]
	v_add_f64 v[76:77], v[76:77], v[80:81]
	v_fma_f64 v[84:85], v[136:137], s[30:31], -v[106:107]
	v_fma_f64 v[86:87], v[128:129], s[0:1], -v[110:111]
	v_add_f64 v[88:89], v[0:1], v[88:89]
	v_mul_f64 v[100:101], v[164:165], s[16:17]
	v_fma_f64 v[106:107], s[44:45], v[132:133], v[104:105]
	v_mul_f64 v[218:219], v[174:175], s[42:43]
	v_add_f64 v[74:75], v[74:75], v[76:77]
	v_fma_f64 v[76:77], v[166:167], s[22:23], -v[82:83]
	v_fma_f64 v[82:83], v[144:145], s[2:3], -v[102:103]
	v_add_f64 v[86:87], v[86:87], v[88:89]
	v_mul_f64 v[96:97], v[170:171], s[18:19]
	v_fma_f64 v[102:103], s[34:35], v[142:143], v[100:101]
	v_add_f64 v[106:107], v[2:3], v[106:107]
	v_mul_f64 v[214:215], v[182:183], s[48:49]
	v_fma_f64 v[220:221], s[30:31], v[122:123], v[218:219]
	v_fma_f64 v[80:81], v[152:153], s[24:25], -v[98:99]
	v_add_f64 v[84:85], v[84:85], v[86:87]
	v_mul_f64 v[92:93], v[172:173], s[24:25]
	v_fma_f64 v[98:99], s[58:59], v[150:151], v[96:97]
	v_add_f64 v[102:103], v[102:103], v[106:107]
	v_mul_f64 v[210:211], v[190:191], s[20:21]
	v_fma_f64 v[216:217], s[16:17], v[128:129], v[214:215]
	v_add_f64 v[220:221], v[0:1], v[220:221]
	v_fmac_f64_e32 v[72:73], s[58:59], v[198:199]
	v_add_f64 v[82:83], v[82:83], v[84:85]
	v_mul_f64 v[88:89], v[176:177], s[0:1]
	v_fma_f64 v[94:95], s[28:29], v[160:161], v[92:93]
	v_add_f64 v[98:99], v[98:99], v[102:103]
	v_mul_f64 v[110:111], v[196:197], s[56:57]
	v_fma_f64 v[212:213], s[18:19], v[136:137], v[210:211]
	v_add_f64 v[216:217], v[216:217], v[220:221]
	v_add_f64 v[74:75], v[72:73], v[74:75]
	v_fma_f64 v[72:73], v[178:179], s[18:19], -v[78:79]
	v_fma_f64 v[78:79], v[158:159], s[16:17], -v[90:91]
	v_add_f64 v[80:81], v[80:81], v[82:83]
	v_mul_f64 v[84:85], v[180:181], s[36:37]
	v_fma_f64 v[90:91], s[50:51], v[168:169], v[88:89]
	v_add_f64 v[94:95], v[94:95], v[98:99]
	v_mul_f64 v[106:107], v[200:201], s[26:27]
	v_fma_f64 v[208:209], s[24:25], v[144:145], v[110:111]
	v_add_f64 v[212:213], v[212:213], v[216:217]
	v_add_f64 v[78:79], v[78:79], v[80:81]
	v_mul_f64 v[82:83], v[186:187], s[2:3]
	v_fma_f64 v[86:87], s[52:53], v[184:185], v[84:85]
	v_add_f64 v[90:91], v[90:91], v[94:95]
	v_mul_f64 v[98:99], v[202:203], s[38:39]
	v_fma_f64 v[108:109], s[0:1], v[152:153], v[106:107]
	v_add_f64 v[208:209], v[208:209], v[212:213]
	v_add_f64 v[76:77], v[76:77], v[78:79]
	v_mul_f64 v[80:81], v[188:189], s[22:23]
	v_fma_f64 v[78:79], s[12:13], v[192:193], v[82:83]
	v_add_f64 v[86:87], v[86:87], v[90:91]
	v_mul_f64 v[90:91], v[204:205], s[54:55]
	v_fma_f64 v[102:103], s[36:37], v[158:159], v[98:99]
	v_add_f64 v[108:109], v[108:109], v[208:209]
	v_add_f64 v[72:73], v[72:73], v[76:77]
	v_fma_f64 v[76:77], s[46:47], v[198:199], v[80:81]
	v_add_f64 v[78:79], v[78:79], v[86:87]
	v_mul_f64 v[86:87], v[206:207], s[40:41]
	v_fma_f64 v[94:95], s[2:3], v[166:167], v[90:91]
	v_add_f64 v[102:103], v[102:103], v[108:109]
	v_add_f64 v[78:79], v[76:77], v[78:79]
	v_fma_f64 v[76:77], s[22:23], v[178:179], v[86:87]
	v_add_f64 v[94:95], v[94:95], v[102:103]
	v_fmac_f64_e32 v[104:105], s[42:43], v[132:133]
	v_add_f64 v[76:77], v[76:77], v[94:95]
	v_fmac_f64_e32 v[100:101], s[48:49], v[142:143]
	;; [unrolled: 2-line block ×6, first 2 shown]
	v_add_f64 v[88:89], v[88:89], v[92:93]
	v_fma_f64 v[96:97], v[122:123], s[30:31], -v[218:219]
	v_mul_f64 v[208:209], v[194:195], s[24:25]
	v_fmac_f64_e32 v[82:83], s[54:55], v[192:193]
	v_add_f64 v[84:85], v[84:85], v[88:89]
	v_fma_f64 v[92:93], v[136:137], s[18:19], -v[210:211]
	v_fma_f64 v[94:95], v[128:129], s[16:17], -v[214:215]
	v_add_f64 v[96:97], v[0:1], v[96:97]
	v_mul_f64 v[108:109], v[164:165], s[22:23]
	v_fma_f64 v[210:211], s[56:57], v[132:133], v[208:209]
	v_mul_f64 v[226:227], v[174:175], s[28:29]
	v_add_f64 v[82:83], v[82:83], v[84:85]
	v_fma_f64 v[84:85], v[166:167], s[2:3], -v[90:91]
	v_fma_f64 v[90:91], v[144:145], s[24:25], -v[110:111]
	v_add_f64 v[94:95], v[94:95], v[96:97]
	v_mul_f64 v[104:105], v[170:171], s[0:1]
	v_fma_f64 v[110:111], s[40:41], v[142:143], v[108:109]
	v_add_f64 v[210:211], v[2:3], v[210:211]
	v_mul_f64 v[222:223], v[182:183], s[46:47]
	v_fma_f64 v[228:229], s[24:25], v[122:123], v[226:227]
	v_fma_f64 v[88:89], v[152:153], s[0:1], -v[106:107]
	v_add_f64 v[92:93], v[92:93], v[94:95]
	v_mul_f64 v[100:101], v[172:173], s[30:31]
	v_fma_f64 v[106:107], s[50:51], v[150:151], v[104:105]
	v_add_f64 v[110:111], v[110:111], v[210:211]
	v_mul_f64 v[218:219], v[190:191], s[26:27]
	v_fma_f64 v[224:225], s[22:23], v[128:129], v[222:223]
	v_add_f64 v[228:229], v[0:1], v[228:229]
	v_fmac_f64_e32 v[80:81], s[40:41], v[198:199]
	v_add_f64 v[90:91], v[90:91], v[92:93]
	v_mul_f64 v[96:97], v[176:177], s[18:19]
	v_fma_f64 v[102:103], s[44:45], v[160:161], v[100:101]
	v_add_f64 v[106:107], v[106:107], v[110:111]
	v_mul_f64 v[214:215], v[196:197], s[42:43]
	v_fma_f64 v[220:221], s[0:1], v[136:137], v[218:219]
	v_add_f64 v[224:225], v[224:225], v[228:229]
	v_add_f64 v[82:83], v[80:81], v[82:83]
	v_fma_f64 v[80:81], v[178:179], s[22:23], -v[86:87]
	v_fma_f64 v[86:87], v[158:159], s[36:37], -v[98:99]
	v_add_f64 v[88:89], v[88:89], v[90:91]
	v_mul_f64 v[92:93], v[180:181], s[2:3]
	v_fma_f64 v[98:99], s[20:21], v[168:169], v[96:97]
	v_add_f64 v[102:103], v[102:103], v[106:107]
	v_mul_f64 v[210:211], v[200:201], s[58:59]
	v_fma_f64 v[216:217], s[30:31], v[144:145], v[214:215]
	v_add_f64 v[220:221], v[220:221], v[224:225]
	v_add_f64 v[86:87], v[86:87], v[88:89]
	v_mul_f64 v[90:91], v[186:187], s[36:37]
	v_fma_f64 v[94:95], s[54:55], v[184:185], v[92:93]
	v_add_f64 v[98:99], v[98:99], v[102:103]
	v_mul_f64 v[106:107], v[202:203], s[12:13]
	v_fma_f64 v[212:213], s[18:19], v[152:153], v[210:211]
	v_add_f64 v[216:217], v[216:217], v[220:221]
	;; [unrolled: 7-line block ×3, first 2 shown]
	v_add_f64 v[80:81], v[80:81], v[84:85]
	v_fma_f64 v[84:85], s[34:35], v[198:199], v[88:89]
	v_add_f64 v[86:87], v[86:87], v[94:95]
	v_mul_f64 v[94:95], v[206:207], s[48:49]
	v_fma_f64 v[102:103], s[36:37], v[166:167], v[98:99]
	v_add_f64 v[110:111], v[110:111], v[212:213]
	v_add_f64 v[86:87], v[84:85], v[86:87]
	v_fma_f64 v[84:85], s[16:17], v[178:179], v[94:95]
	v_add_f64 v[102:103], v[102:103], v[110:111]
	v_fmac_f64_e32 v[208:209], s[28:29], v[132:133]
	v_add_f64 v[84:85], v[84:85], v[102:103]
	v_fmac_f64_e32 v[108:109], s[46:47], v[142:143]
	;; [unrolled: 2-line block ×6, first 2 shown]
	v_add_f64 v[96:97], v[96:97], v[100:101]
	v_fma_f64 v[104:105], v[122:123], s[24:25], -v[226:227]
	v_mul_f64 v[216:217], v[194:195], s[22:23]
	v_fmac_f64_e32 v[90:91], s[38:39], v[192:193]
	v_add_f64 v[92:93], v[92:93], v[96:97]
	v_fma_f64 v[100:101], v[136:137], s[0:1], -v[218:219]
	v_fma_f64 v[102:103], v[128:129], s[22:23], -v[222:223]
	v_add_f64 v[104:105], v[0:1], v[104:105]
	v_mul_f64 v[212:213], v[164:165], s[30:31]
	v_fma_f64 v[218:219], s[46:47], v[132:133], v[216:217]
	v_mul_f64 v[232:233], v[174:175], s[40:41]
	v_add_f64 v[90:91], v[90:91], v[92:93]
	v_fma_f64 v[92:93], v[166:167], s[36:37], -v[98:99]
	v_fma_f64 v[98:99], v[144:145], s[30:31], -v[214:215]
	v_add_f64 v[102:103], v[102:103], v[104:105]
	v_mul_f64 v[208:209], v[170:171], s[2:3]
	v_fma_f64 v[214:215], s[42:43], v[142:143], v[212:213]
	v_add_f64 v[218:219], v[2:3], v[218:219]
	v_mul_f64 v[228:229], v[182:183], s[44:45]
	v_fma_f64 v[234:235], s[22:23], v[122:123], v[232:233]
	v_fma_f64 v[96:97], v[152:153], s[18:19], -v[210:211]
	v_add_f64 v[100:101], v[100:101], v[102:103]
	v_mul_f64 v[108:109], v[172:173], s[16:17]
	v_fma_f64 v[210:211], s[12:13], v[150:151], v[208:209]
	v_add_f64 v[214:215], v[214:215], v[218:219]
	v_mul_f64 v[226:227], v[190:191], s[54:55]
	v_fma_f64 v[230:231], s[30:31], v[128:129], v[228:229]
	v_add_f64 v[234:235], v[0:1], v[234:235]
	v_fmac_f64_e32 v[88:89], s[48:49], v[198:199]
	v_add_f64 v[98:99], v[98:99], v[100:101]
	v_mul_f64 v[104:105], v[176:177], s[36:37]
	v_fma_f64 v[110:111], s[48:49], v[160:161], v[108:109]
	v_add_f64 v[210:211], v[210:211], v[214:215]
	v_mul_f64 v[222:223], v[196:197], s[34:35]
	v_add_f64 v[230:231], v[230:231], v[234:235]
	v_fma_f64 v[234:235], s[2:3], v[136:137], v[226:227]
	v_add_f64 v[90:91], v[88:89], v[90:91]
	v_fma_f64 v[88:89], v[178:179], s[16:17], -v[94:95]
	v_fma_f64 v[94:95], v[158:159], s[2:3], -v[106:107]
	v_add_f64 v[96:97], v[96:97], v[98:99]
	v_mul_f64 v[100:101], v[180:181], s[18:19]
	v_fma_f64 v[106:107], s[52:53], v[168:169], v[104:105]
	v_add_f64 v[110:111], v[110:111], v[210:211]
	v_mul_f64 v[218:219], v[200:201], s[38:39]
	v_fma_f64 v[224:225], s[16:17], v[144:145], v[222:223]
	v_add_f64 v[230:231], v[234:235], v[230:231]
	v_add_f64 v[94:95], v[94:95], v[96:97]
	v_mul_f64 v[98:99], v[186:187], s[0:1]
	v_fma_f64 v[102:103], s[20:21], v[184:185], v[100:101]
	v_add_f64 v[106:107], v[106:107], v[110:111]
	v_mul_f64 v[210:211], v[202:203], s[58:59]
	v_fma_f64 v[220:221], s[36:37], v[152:153], v[218:219]
	v_add_f64 v[224:225], v[224:225], v[230:231]
	;; [unrolled: 7-line block ×3, first 2 shown]
	v_add_f64 v[88:89], v[88:89], v[92:93]
	v_fma_f64 v[92:93], s[56:57], v[198:199], v[96:97]
	v_add_f64 v[94:95], v[94:95], v[102:103]
	v_mul_f64 v[102:103], v[206:207], s[28:29]
	v_fma_f64 v[110:111], s[0:1], v[166:167], v[106:107]
	v_add_f64 v[214:215], v[214:215], v[220:221]
	v_add_f64 v[94:95], v[92:93], v[94:95]
	v_fma_f64 v[92:93], s[24:25], v[178:179], v[102:103]
	v_add_f64 v[110:111], v[110:111], v[214:215]
	v_fmac_f64_e32 v[216:217], s[40:41], v[132:133]
	v_add_f64 v[92:93], v[92:93], v[110:111]
	v_fmac_f64_e32 v[212:213], s[44:45], v[142:143]
	v_add_f64 v[110:111], v[2:3], v[216:217]
	v_fmac_f64_e32 v[208:209], s[54:55], v[150:151]
	v_add_f64 v[110:111], v[212:213], v[110:111]
	v_fmac_f64_e32 v[108:109], s[34:35], v[160:161]
	v_add_f64 v[110:111], v[208:209], v[110:111]
	v_fmac_f64_e32 v[104:105], s[38:39], v[168:169]
	v_add_f64 v[108:109], v[108:109], v[110:111]
	v_fmac_f64_e32 v[100:101], s[58:59], v[184:185]
	v_add_f64 v[104:105], v[104:105], v[108:109]
	v_fma_f64 v[208:209], v[122:123], s[22:23], -v[232:233]
	v_mul_f64 v[224:225], v[194:195], s[18:19]
	v_fmac_f64_e32 v[98:99], s[26:27], v[192:193]
	v_add_f64 v[100:101], v[100:101], v[104:105]
	v_fma_f64 v[108:109], v[136:137], s[2:3], -v[226:227]
	v_fma_f64 v[110:111], v[128:129], s[30:31], -v[228:229]
	v_add_f64 v[208:209], v[0:1], v[208:209]
	v_mul_f64 v[220:221], v[164:165], s[36:37]
	v_fma_f64 v[226:227], s[58:59], v[132:133], v[224:225]
	v_mul_f64 v[232:233], v[174:175], s[20:21]
	v_fmac_f64_e32 v[224:225], s[20:21], v[132:133]
	v_add_f64 v[98:99], v[98:99], v[100:101]
	v_fma_f64 v[100:101], v[166:167], s[0:1], -v[106:107]
	v_fma_f64 v[106:107], v[144:145], s[16:17], -v[222:223]
	v_add_f64 v[110:111], v[110:111], v[208:209]
	v_mul_f64 v[216:217], v[170:171], s[22:23]
	v_fma_f64 v[222:223], s[52:53], v[142:143], v[220:221]
	v_add_f64 v[226:227], v[2:3], v[226:227]
	v_mul_f64 v[228:229], v[182:183], s[38:39]
	v_fma_f64 v[234:235], s[18:19], v[122:123], v[232:233]
	v_fmac_f64_e32 v[220:221], s[38:39], v[142:143]
	v_add_f64 v[224:225], v[2:3], v[224:225]
	v_fma_f64 v[104:105], v[152:153], s[36:37], -v[218:219]
	v_add_f64 v[108:109], v[108:109], v[110:111]
	v_mul_f64 v[212:213], v[172:173], s[0:1]
	v_fma_f64 v[218:219], s[40:41], v[150:151], v[216:217]
	v_add_f64 v[222:223], v[222:223], v[226:227]
	v_mul_f64 v[226:227], v[190:191], s[46:47]
	v_fma_f64 v[230:231], s[36:37], v[128:129], v[228:229]
	v_add_f64 v[234:235], v[0:1], v[234:235]
	v_fmac_f64_e32 v[216:217], s[46:47], v[150:151]
	v_add_f64 v[220:221], v[220:221], v[224:225]
	v_fmac_f64_e32 v[96:97], s[28:29], v[198:199]
	v_add_f64 v[106:107], v[106:107], v[108:109]
	v_mul_f64 v[208:209], v[176:177], s[16:17]
	v_fma_f64 v[214:215], s[26:27], v[160:161], v[212:213]
	v_add_f64 v[218:219], v[218:219], v[222:223]
	v_mul_f64 v[222:223], v[196:197], s[50:51]
	v_add_f64 v[230:231], v[230:231], v[234:235]
	v_fma_f64 v[234:235], s[22:23], v[136:137], v[226:227]
	v_fmac_f64_e32 v[212:213], s[50:51], v[160:161]
	v_add_f64 v[216:217], v[216:217], v[220:221]
	v_add_f64 v[98:99], v[96:97], v[98:99]
	v_fma_f64 v[96:97], v[178:179], s[24:25], -v[102:103]
	v_fma_f64 v[102:103], v[158:159], s[18:19], -v[210:211]
	v_add_f64 v[104:105], v[104:105], v[106:107]
	v_mul_f64 v[108:109], v[180:181], s[30:31]
	v_fma_f64 v[210:211], s[48:49], v[168:169], v[208:209]
	v_add_f64 v[214:215], v[214:215], v[218:219]
	v_mul_f64 v[218:219], v[200:201], s[34:35]
	v_add_f64 v[230:231], v[234:235], v[230:231]
	v_fma_f64 v[234:235], s[0:1], v[144:145], v[222:223]
	v_fmac_f64_e32 v[208:209], s[34:35], v[168:169]
	v_add_f64 v[212:213], v[212:213], v[216:217]
	v_add_f64 v[102:103], v[102:103], v[104:105]
	v_mul_f64 v[106:107], v[186:187], s[24:25]
	v_fma_f64 v[110:111], s[44:45], v[184:185], v[108:109]
	v_add_f64 v[210:211], v[210:211], v[214:215]
	v_mul_f64 v[214:215], v[202:203], s[42:43]
	v_add_f64 v[230:231], v[234:235], v[230:231]
	v_fma_f64 v[234:235], s[16:17], v[152:153], v[218:219]
	v_fmac_f64_e32 v[108:109], s[42:43], v[184:185]
	v_add_f64 v[208:209], v[208:209], v[212:213]
	;; [unrolled: 9-line block ×3, first 2 shown]
	v_add_f64 v[96:97], v[96:97], v[100:101]
	v_fma_f64 v[100:101], s[12:13], v[198:199], v[104:105]
	v_add_f64 v[102:103], v[102:103], v[110:111]
	v_mul_f64 v[110:111], v[206:207], s[54:55]
	v_add_f64 v[230:231], v[234:235], v[230:231]
	v_fma_f64 v[234:235], s[24:25], v[166:167], v[210:211]
	v_fmac_f64_e32 v[104:105], s[54:55], v[198:199]
	v_add_f64 v[106:107], v[106:107], v[108:109]
	v_fma_f64 v[216:217], v[122:123], s[18:19], -v[232:233]
	v_add_f64 v[102:103], v[100:101], v[102:103]
	v_fma_f64 v[100:101], s[2:3], v[178:179], v[110:111]
	v_add_f64 v[230:231], v[234:235], v[230:231]
	v_add_f64 v[106:107], v[104:105], v[106:107]
	v_fma_f64 v[104:105], v[178:179], s[2:3], -v[110:111]
	v_fma_f64 v[110:111], v[158:159], s[30:31], -v[214:215]
	v_fma_f64 v[214:215], v[128:129], s[36:37], -v[228:229]
	v_add_f64 v[216:217], v[0:1], v[216:217]
	v_mul_f64 v[228:229], v[194:195], s[16:17]
	v_add_f64 v[100:101], v[100:101], v[230:231]
	v_fma_f64 v[212:213], v[136:137], s[22:23], -v[226:227]
	v_add_f64 v[214:215], v[214:215], v[216:217]
	v_mul_f64 v[224:225], v[164:165], s[24:25]
	v_fma_f64 v[230:231], s[48:49], v[132:133], v[228:229]
	v_fma_f64 v[108:109], v[166:167], s[24:25], -v[210:211]
	v_fma_f64 v[210:211], v[144:145], s[0:1], -v[222:223]
	v_add_f64 v[212:213], v[212:213], v[214:215]
	v_mul_f64 v[220:221], v[170:171], s[36:37]
	v_fma_f64 v[226:227], s[56:57], v[142:143], v[224:225]
	v_add_f64 v[230:231], v[2:3], v[230:231]
	v_fma_f64 v[208:209], v[152:153], s[16:17], -v[218:219]
	v_add_f64 v[210:211], v[210:211], v[212:213]
	v_mul_f64 v[216:217], v[172:173], s[22:23]
	v_fma_f64 v[222:223], s[38:39], v[150:151], v[220:221]
	v_add_f64 v[226:227], v[226:227], v[230:231]
	v_add_f64 v[208:209], v[208:209], v[210:211]
	v_mul_f64 v[212:213], v[176:177], s[2:3]
	v_fma_f64 v[218:219], s[40:41], v[160:161], v[216:217]
	v_add_f64 v[222:223], v[222:223], v[226:227]
	;; [unrolled: 4-line block ×4, first 2 shown]
	v_mul_f64 v[234:235], v[174:175], s[34:35]
	v_add_f64 v[104:105], v[104:105], v[108:109]
	v_fma_f64 v[108:109], s[58:59], v[192:193], v[208:209]
	v_add_f64 v[110:111], v[110:111], v[214:215]
	v_mul_f64 v[232:233], v[182:183], s[28:29]
	v_fma_f64 v[236:237], s[16:17], v[122:123], v[234:235]
	v_add_f64 v[108:109], v[108:109], v[110:111]
	v_mul_f64 v[230:231], v[190:191], s[52:53]
	;; [unrolled: 3-line block ×3, first 2 shown]
	v_add_f64 v[110:111], v[110:111], v[236:237]
	v_fma_f64 v[236:237], s[36:37], v[136:137], v[230:231]
	v_fmac_f64_e32 v[228:229], s[34:35], v[132:133]
	v_mul_f64 v[222:223], v[200:201], s[54:55]
	v_add_f64 v[110:111], v[236:237], v[110:111]
	v_fma_f64 v[236:237], s[22:23], v[144:145], v[226:227]
	v_fmac_f64_e32 v[224:225], s[28:29], v[142:143]
	v_add_f64 v[228:229], v[2:3], v[228:229]
	v_mul_f64 v[218:219], v[202:203], s[26:27]
	v_add_f64 v[110:111], v[236:237], v[110:111]
	v_fma_f64 v[236:237], s[2:3], v[152:153], v[222:223]
	v_add_f64 v[224:225], v[224:225], v[228:229]
	v_fmac_f64_e32 v[220:221], s[52:53], v[150:151]
	v_mul_f64 v[214:215], v[204:205], s[20:21]
	v_add_f64 v[110:111], v[236:237], v[110:111]
	v_fma_f64 v[236:237], s[0:1], v[158:159], v[218:219]
	v_add_f64 v[220:221], v[220:221], v[224:225]
	v_fmac_f64_e32 v[216:217], s[46:47], v[160:161]
	v_add_f64 v[110:111], v[236:237], v[110:111]
	v_fma_f64 v[236:237], s[18:19], v[166:167], v[214:215]
	v_mul_f64 v[238:239], v[188:189], s[30:31]
	v_add_f64 v[216:217], v[216:217], v[220:221]
	v_fmac_f64_e32 v[212:213], s[54:55], v[168:169]
	v_add_f64 v[236:237], v[236:237], v[110:111]
	v_fma_f64 v[110:111], s[44:45], v[198:199], v[238:239]
	v_mul_f64 v[240:241], v[206:207], s[42:43]
	;; [unrolled: 5-line block ×3, first 2 shown]
	v_add_f64 v[210:211], v[210:211], v[212:213]
	v_fmac_f64_e32 v[208:209], s[20:21], v[192:193]
	v_fma_f64 v[212:213], v[122:123], s[16:17], -v[234:235]
	v_mul_f64 v[194:195], v[194:195], s[2:3]
	v_add_f64 v[108:109], v[108:109], v[236:237]
	v_add_f64 v[208:209], v[208:209], v[210:211]
	v_fma_f64 v[210:211], v[128:129], s[24:25], -v[232:233]
	v_add_f64 v[212:213], v[0:1], v[212:213]
	v_mul_f64 v[232:233], v[164:165], s[18:19]
	v_fma_f64 v[236:237], s[54:55], v[132:133], v[194:195]
	v_add_f64 v[212:213], v[210:211], v[212:213]
	v_fma_f64 v[216:217], v[158:159], s[0:1], -v[218:219]
	v_fma_f64 v[218:219], v[152:153], s[2:3], -v[222:223]
	;; [unrolled: 1-line block ×4, first 2 shown]
	v_mul_f64 v[230:231], v[170:171], s[24:25]
	v_fma_f64 v[234:235], s[58:59], v[142:143], v[232:233]
	v_add_f64 v[236:237], v[2:3], v[236:237]
	v_add_f64 v[212:213], v[226:227], v[212:213]
	v_mul_f64 v[228:229], v[172:173], s[36:37]
	v_add_f64 v[234:235], v[234:235], v[236:237]
	v_fma_f64 v[236:237], s[56:57], v[150:151], v[230:231]
	v_add_f64 v[212:213], v[222:223], v[212:213]
	v_mul_f64 v[226:227], v[176:177], s[30:31]
	v_add_f64 v[234:235], v[236:237], v[234:235]
	v_fma_f64 v[236:237], s[52:53], v[160:161], v[228:229]
	;; [unrolled: 4-line block ×3, first 2 shown]
	v_fmac_f64_e32 v[238:239], s[42:43], v[198:199]
	v_fma_f64 v[214:215], v[166:167], s[18:19], -v[214:215]
	v_add_f64 v[212:213], v[216:217], v[212:213]
	v_mul_f64 v[218:219], v[186:187], s[16:17]
	v_add_f64 v[234:235], v[236:237], v[234:235]
	v_fma_f64 v[236:237], s[40:41], v[184:185], v[222:223]
	v_add_f64 v[210:211], v[238:239], v[208:209]
	v_fma_f64 v[208:209], v[178:179], s[30:31], -v[240:241]
	v_add_f64 v[212:213], v[214:215], v[212:213]
	v_mul_f64 v[216:217], v[188:189], s[0:1]
	v_fma_f64 v[214:215], s[34:35], v[192:193], v[218:219]
	v_add_f64 v[234:235], v[236:237], v[234:235]
	v_mul_f64 v[174:175], v[174:175], s[12:13]
	v_add_f64 v[208:209], v[208:209], v[212:213]
	v_fma_f64 v[212:213], s[26:27], v[198:199], v[216:217]
	v_add_f64 v[214:215], v[214:215], v[234:235]
	v_mul_f64 v[182:183], v[182:183], s[20:21]
	v_fma_f64 v[234:235], s[2:3], v[122:123], v[174:175]
	v_add_f64 v[214:215], v[212:213], v[214:215]
	v_mul_f64 v[190:191], v[190:191], s[28:29]
	;; [unrolled: 3-line block ×3, first 2 shown]
	v_add_f64 v[212:213], v[212:213], v[234:235]
	v_fma_f64 v[234:235], s[24:25], v[136:137], v[190:191]
	v_mul_f64 v[224:225], v[122:123], s[0:1]
	v_mul_f64 v[200:201], v[200:201], s[44:45]
	v_add_f64 v[212:213], v[234:235], v[212:213]
	v_fma_f64 v[234:235], s[36:37], v[144:145], v[196:197]
	v_mul_f64 v[202:203], v[202:203], s[46:47]
	v_add_f64 v[212:213], v[234:235], v[212:213]
	v_fma_f64 v[234:235], s[30:31], v[152:153], v[200:201]
	v_fmac_f64_e32 v[194:195], s[12:13], v[132:133]
	v_fma_f64 v[122:123], v[122:123], s[2:3], -v[174:175]
	v_add_f64 v[116:117], v[116:117], v[220:221]
	v_add_f64 v[112:113], v[224:225], -v[112:113]
	v_mul_f64 v[204:205], v[204:205], s[48:49]
	v_add_f64 v[212:213], v[234:235], v[212:213]
	v_fma_f64 v[234:235], s[22:23], v[158:159], v[202:203]
	v_add_f64 v[132:133], v[2:3], v[194:195]
	v_add_f64 v[122:123], v[0:1], v[122:123]
	;; [unrolled: 1-line block ×6, first 2 shown]
	v_mul_f64 v[206:207], v[206:207], s[50:51]
	v_add_f64 v[212:213], v[234:235], v[212:213]
	v_fma_f64 v[234:235], s[16:17], v[166:167], v[204:205]
	v_add_f64 v[2:3], v[2:3], v[10:11]
	v_add_f64 v[0:1], v[0:1], v[8:9]
	;; [unrolled: 1-line block ×3, first 2 shown]
	v_fma_f64 v[234:235], s[0:1], v[178:179], v[206:207]
	v_fmac_f64_e32 v[232:233], s[20:21], v[142:143]
	v_add_f64 v[2:3], v[2:3], v[14:15]
	v_add_f64 v[0:1], v[0:1], v[12:13]
	;; [unrolled: 1-line block ×3, first 2 shown]
	v_mul_f64 v[234:235], v[128:129], s[2:3]
	v_fmac_f64_e32 v[230:231], s[28:29], v[150:151]
	v_add_f64 v[132:133], v[232:233], v[132:133]
	v_fma_f64 v[128:129], v[128:129], s[18:19], -v[182:183]
	v_add_f64 v[2:3], v[2:3], v[18:19]
	v_add_f64 v[0:1], v[0:1], v[16:17]
	v_mul_f64 v[236:237], v[136:137], s[16:17]
	v_fmac_f64_e32 v[228:229], s[38:39], v[160:161]
	v_add_f64 v[132:133], v[230:231], v[132:133]
	v_fma_f64 v[136:137], v[136:137], s[24:25], -v[190:191]
	v_add_f64 v[122:123], v[128:129], v[122:123]
	v_add_f64 v[2:3], v[2:3], v[22:23]
	;; [unrolled: 1-line block ×3, first 2 shown]
	v_mul_f64 v[164:165], v[164:165], s[2:3]
	v_fmac_f64_e32 v[216:217], s[50:51], v[198:199]
	v_mul_f64 v[198:199], v[144:145], s[18:19]
	v_fmac_f64_e32 v[226:227], s[44:45], v[168:169]
	v_add_f64 v[132:133], v[228:229], v[132:133]
	v_fma_f64 v[144:145], v[144:145], s[36:37], -v[196:197]
	v_add_f64 v[122:123], v[136:137], v[122:123]
	v_add_f64 v[2:3], v[2:3], v[26:27]
	;; [unrolled: 1-line block ×3, first 2 shown]
	v_mul_f64 v[170:171], v[170:171], s[16:17]
	v_fmac_f64_e32 v[218:219], s[48:49], v[192:193]
	v_mul_f64 v[192:193], v[152:153], s[22:23]
	v_fmac_f64_e32 v[222:223], s[46:47], v[184:185]
	v_add_f64 v[132:133], v[226:227], v[132:133]
	v_fma_f64 v[152:153], v[152:153], s[30:31], -v[200:201]
	v_add_f64 v[122:123], v[144:145], v[122:123]
	v_add_f64 v[120:121], v[120:121], v[164:165]
	v_add_f64 v[2:3], v[2:3], v[30:31]
	v_add_f64 v[0:1], v[0:1], v[28:29]
	v_mul_f64 v[172:173], v[172:173], s[18:19]
	v_add_f64 v[132:133], v[222:223], v[132:133]
	v_fma_f64 v[150:151], v[158:159], s[22:23], -v[202:203]
	v_add_f64 v[122:123], v[152:153], v[122:123]
	v_add_f64 v[126:127], v[126:127], v[170:171]
	v_add_f64 v[116:117], v[120:121], v[116:117]
	v_add_f64 v[2:3], v[2:3], v[34:35]
	v_add_f64 v[0:1], v[0:1], v[32:33]
	v_mul_f64 v[176:177], v[176:177], s[22:23]
	v_add_f64 v[132:133], v[218:219], v[132:133]
	v_fma_f64 v[142:143], v[166:167], s[16:17], -v[204:205]
	v_add_f64 v[122:123], v[150:151], v[122:123]
	;; [unrolled: 8-line block ×3, first 2 shown]
	v_add_f64 v[136:137], v[140:141], v[176:177]
	v_add_f64 v[116:117], v[134:135], v[116:117]
	v_add_f64 v[114:115], v[234:235], -v[114:115]
	v_add_f64 v[2:3], v[2:3], v[42:43]
	v_add_f64 v[0:1], v[0:1], v[40:41]
	v_mul_f64 v[184:185], v[158:159], s[24:25]
	v_mul_f64 v[186:187], v[186:187], s[30:31]
	v_add_f64 v[158:159], v[132:133], v[122:123]
	v_add_f64 v[132:133], v[148:149], v[180:181]
	;; [unrolled: 1-line block ×3, first 2 shown]
	v_add_f64 v[118:119], v[236:237], -v[118:119]
	v_add_f64 v[112:113], v[114:115], v[112:113]
	v_add_f64 v[2:3], v[2:3], v[46:47]
	v_add_f64 v[0:1], v[0:1], v[44:45]
	v_add_f64 v[128:129], v[156:157], v[186:187]
	v_add_f64 v[116:117], v[132:133], v[116:117]
	v_add_f64 v[124:125], v[198:199], -v[124:125]
	v_add_f64 v[112:113], v[118:119], v[112:113]
	v_add_f64 v[2:3], v[2:3], v[50:51]
	v_add_f64 v[0:1], v[0:1], v[48:49]
	v_mul_f64 v[188:189], v[188:189], s[36:37]
	v_add_f64 v[116:117], v[128:129], v[116:117]
	v_add_f64 v[128:129], v[192:193], -v[130:131]
	v_add_f64 v[112:113], v[124:125], v[112:113]
	v_add_f64 v[2:3], v[2:3], v[54:55]
	v_add_f64 v[0:1], v[0:1], v[52:53]
	v_mul_f64 v[168:169], v[166:167], s[30:31]
	v_add_f64 v[122:123], v[162:163], v[188:189]
	;; [unrolled: 6-line block ×3, first 2 shown]
	v_add_f64 v[122:123], v[168:169], -v[146:147]
	v_add_f64 v[112:113], v[126:127], v[112:113]
	v_add_f64 v[2:3], v[2:3], v[62:63]
	;; [unrolled: 1-line block ×3, first 2 shown]
	v_mul_u32_u24_e32 v4, 17, v254
	v_add_f64 v[120:121], v[238:239], -v[154:155]
	v_add_f64 v[112:113], v[122:123], v[112:113]
	v_add_f64 v[2:3], v[2:3], v[66:67]
	;; [unrolled: 1-line block ×3, first 2 shown]
	v_lshlrev_b32_e32 v4, 4, v4
	v_add_f64 v[114:115], v[120:121], v[112:113]
	ds_write_b128 v4, v[0:3]
	ds_write_b128 v4, v[114:117] offset:16
	ds_write_b128 v4, v[158:161] offset:32
	;; [unrolled: 1-line block ×16, first 2 shown]
.LBB0_7:
	s_or_b64 exec, exec, s[60:61]
	s_movk_i32 s0, 0x66
	v_accvgpr_read_b32 v0, a0
	v_add_co_u32_e64 v224, s[0:1], s0, v0
	s_movk_i32 s0, 0x99
	v_add_co_u32_e64 v223, s[0:1], s0, v0
	s_movk_i32 s0, 0xcc
	;; [unrolled: 2-line block ×9, first 2 shown]
	v_accvgpr_read_b32 v134, a0
	v_mul_lo_u16_sdwa v132, v134, s0 dst_sel:DWORD dst_unused:UNUSED_PAD src0_sel:BYTE_0 src1_sel:DWORD
	v_lshrrev_b16_e32 v229, 12, v132
	v_mul_lo_u16_e32 v132, 17, v229
	v_sub_u16_e32 v231, v134, v132
	v_lshlrev_b16_e32 v132, 1, v231
	v_and_b32_e32 v132, 0xfe, v132
	v_lshlrev_b32_e32 v132, 4, v132
	s_waitcnt lgkmcnt(0)
	; wave barrier
	s_waitcnt lgkmcnt(0)
	ds_read_b128 v[40:43], v248
	ds_read_b128 v[128:131], v248 offset:8976
	ds_read_b128 v[124:127], v248 offset:17952
	;; [unrolled: 1-line block ×32, first 2 shown]
	global_load_dwordx4 v[140:143], v132, s[4:5] offset:16
	global_load_dwordx4 v[136:139], v132, s[4:5]
	s_mov_b32 s12, 0xe8584caa
	s_mov_b32 s13, 0x3febb67a
	;; [unrolled: 1-line block ×4, first 2 shown]
	v_accvgpr_read_b32 v216, a0
	s_movk_i32 s1, 0xa1
	s_mov_b32 s30, 0xf8bb580b
	s_mov_b32 s42, 0x8eee2c13
	;; [unrolled: 1-line block ×23, first 2 shown]
	v_accvgpr_write_b32 a74, v254
	s_add_u32 s2, s6, 0x6930
	s_addc_u32 s3, s7, 0
	s_waitcnt vmcnt(1)
	v_accvgpr_write_b32 a80, v140
	s_waitcnt vmcnt(0) lgkmcnt(14)
	v_mul_f64 v[132:133], v[130:131], v[138:139]
	v_fma_f64 v[132:133], v[128:129], v[136:137], -v[132:133]
	v_mul_f64 v[134:135], v[128:129], v[138:139]
	v_accvgpr_write_b32 a84, v136
	v_mul_f64 v[128:129], v[126:127], v[142:143]
	v_accvgpr_write_b32 a85, v137
	v_accvgpr_write_b32 a86, v138
	;; [unrolled: 1-line block ×3, first 2 shown]
	v_fmac_f64_e32 v[134:135], v[130:131], v[136:137]
	v_fma_f64 v[136:137], v[124:125], v[140:141], -v[128:129]
	v_mul_f64 v[138:139], v[124:125], v[142:143]
	v_mul_lo_u16_sdwa v124, v254, s0 dst_sel:DWORD dst_unused:UNUSED_PAD src0_sel:BYTE_0 src1_sel:DWORD
	v_lshrrev_b16_e32 v212, 12, v124
	v_mul_lo_u16_e32 v124, 17, v212
	v_sub_u16_e32 v124, v254, v124
	v_and_b32_e32 v213, 0xff, v124
	v_lshlrev_b32_e32 v124, 5, v213
	v_fmac_f64_e32 v[138:139], v[126:127], v[140:141]
	global_load_dwordx4 v[126:129], v124, s[4:5] offset:16
	global_load_dwordx4 v[144:147], v124, s[4:5]
	v_accvgpr_write_b32 a81, v141
	v_accvgpr_write_b32 a82, v142
	;; [unrolled: 1-line block ×3, first 2 shown]
	s_waitcnt vmcnt(1)
	v_accvgpr_write_b32 a88, v126
	s_waitcnt vmcnt(0)
	v_mul_f64 v[124:125], v[122:123], v[146:147]
	v_fma_f64 v[140:141], v[120:121], v[144:145], -v[124:125]
	v_mul_f64 v[142:143], v[120:121], v[146:147]
	v_accvgpr_write_b32 a92, v144
	v_mul_f64 v[120:121], v[118:119], v[128:129]
	v_accvgpr_write_b32 a93, v145
	v_accvgpr_write_b32 a94, v146
	;; [unrolled: 1-line block ×3, first 2 shown]
	v_fmac_f64_e32 v[142:143], v[122:123], v[144:145]
	v_fma_f64 v[144:145], v[116:117], v[126:127], -v[120:121]
	v_mul_f64 v[146:147], v[116:117], v[128:129]
	v_mul_lo_u16_sdwa v116, v224, s0 dst_sel:DWORD dst_unused:UNUSED_PAD src0_sel:BYTE_0 src1_sel:DWORD
	v_lshrrev_b16_e32 v214, 12, v116
	v_mul_lo_u16_e32 v116, 17, v214
	v_sub_u16_e32 v116, v224, v116
	v_and_b32_e32 v215, 0xff, v116
	v_lshlrev_b32_e32 v116, 5, v215
	v_fmac_f64_e32 v[146:147], v[118:119], v[126:127]
	global_load_dwordx4 v[118:121], v116, s[4:5] offset:16
	global_load_dwordx4 v[122:125], v116, s[4:5]
	v_accvgpr_write_b32 a89, v127
	v_accvgpr_write_b32 a90, v128
	;; [unrolled: 1-line block ×3, first 2 shown]
	s_waitcnt vmcnt(1)
	v_mul_f64 v[154:155], v[108:109], v[120:121]
	s_waitcnt vmcnt(0)
	v_mul_f64 v[116:117], v[114:115], v[124:125]
	v_fma_f64 v[148:149], v[112:113], v[122:123], -v[116:117]
	v_mul_f64 v[150:151], v[112:113], v[124:125]
	v_mul_f64 v[112:113], v[110:111], v[120:121]
	v_fma_f64 v[152:153], v[108:109], v[118:119], -v[112:113]
	v_mul_lo_u16_sdwa v108, v223, s0 dst_sel:DWORD dst_unused:UNUSED_PAD src0_sel:BYTE_0 src1_sel:DWORD
	v_lshrrev_b16_e32 v225, 12, v108
	v_mul_lo_u16_e32 v108, 17, v225
	v_sub_u16_e32 v108, v223, v108
	v_and_b32_e32 v226, 0xff, v108
	v_lshlrev_b32_e32 v108, 5, v226
	v_fmac_f64_e32 v[150:151], v[114:115], v[122:123]
	v_fmac_f64_e32 v[154:155], v[110:111], v[118:119]
	global_load_dwordx4 v[110:113], v108, s[4:5] offset:16
	global_load_dwordx4 v[114:117], v108, s[4:5]
	v_accvgpr_write_b32 a100, v122
	v_accvgpr_write_b32 a101, v123
	;; [unrolled: 1-line block ×8, first 2 shown]
	s_waitcnt vmcnt(1)
	v_mul_f64 v[162:163], v[100:101], v[112:113]
	s_waitcnt vmcnt(0)
	v_mul_f64 v[108:109], v[106:107], v[116:117]
	v_fma_f64 v[156:157], v[104:105], v[114:115], -v[108:109]
	v_mul_f64 v[158:159], v[104:105], v[116:117]
	v_mul_f64 v[104:105], v[102:103], v[112:113]
	v_fma_f64 v[160:161], v[100:101], v[110:111], -v[104:105]
	v_mul_lo_u16_sdwa v100, v222, s0 dst_sel:DWORD dst_unused:UNUSED_PAD src0_sel:BYTE_0 src1_sel:DWORD
	v_lshrrev_b16_e32 v227, 12, v100
	v_mul_lo_u16_e32 v100, 17, v227
	v_sub_u16_e32 v100, v222, v100
	v_and_b32_e32 v228, 0xff, v100
	v_lshlrev_b32_e32 v100, 5, v228
	v_fmac_f64_e32 v[158:159], v[106:107], v[114:115]
	v_fmac_f64_e32 v[162:163], v[102:103], v[110:111]
	global_load_dwordx4 v[102:105], v100, s[4:5] offset:16
	global_load_dwordx4 v[106:109], v100, s[4:5]
	s_mov_b32 s0, 0xf0f1
	v_accvgpr_write_b32 a108, v114
	v_accvgpr_write_b32 a109, v115
	;; [unrolled: 1-line block ×8, first 2 shown]
	s_waitcnt vmcnt(1)
	v_mul_f64 v[170:171], v[92:93], v[104:105]
	s_waitcnt vmcnt(0)
	v_mul_f64 v[100:101], v[98:99], v[108:109]
	v_fma_f64 v[164:165], v[96:97], v[106:107], -v[100:101]
	v_mul_f64 v[166:167], v[96:97], v[108:109]
	v_mul_f64 v[96:97], v[94:95], v[104:105]
	v_fma_f64 v[168:169], v[92:93], v[102:103], -v[96:97]
	v_mul_u32_u24_sdwa v92, v221, s0 dst_sel:DWORD dst_unused:UNUSED_PAD src0_sel:WORD_0 src1_sel:DWORD
	v_lshrrev_b32_e32 v230, 20, v92
	v_mul_lo_u16_e32 v92, 17, v230
	v_sub_u16_e32 v232, v221, v92
	v_lshlrev_b16_e32 v92, 1, v232
	v_lshlrev_b32_e32 v92, 4, v92
	v_fmac_f64_e32 v[166:167], v[98:99], v[106:107]
	v_fmac_f64_e32 v[170:171], v[94:95], v[102:103]
	global_load_dwordx4 v[94:97], v92, s[4:5] offset:16
	global_load_dwordx4 v[98:101], v92, s[4:5]
	v_accvgpr_write_b32 a119, v109
	v_accvgpr_write_b32 a118, v108
	;; [unrolled: 1-line block ×8, first 2 shown]
	s_waitcnt vmcnt(1)
	v_mul_f64 v[178:179], v[84:85], v[96:97]
	s_waitcnt vmcnt(0)
	v_mul_f64 v[92:93], v[90:91], v[100:101]
	v_fma_f64 v[172:173], v[88:89], v[98:99], -v[92:93]
	v_mul_f64 v[174:175], v[88:89], v[100:101]
	v_mul_f64 v[88:89], v[86:87], v[96:97]
	v_fma_f64 v[176:177], v[84:85], v[94:95], -v[88:89]
	v_mul_u32_u24_sdwa v84, v220, s0 dst_sel:DWORD dst_unused:UNUSED_PAD src0_sel:WORD_0 src1_sel:DWORD
	v_lshrrev_b32_e32 v233, 20, v84
	v_mul_lo_u16_e32 v84, 17, v233
	v_sub_u16_e32 v234, v220, v84
	v_lshlrev_b16_e32 v84, 1, v234
	v_lshlrev_b32_e32 v84, 4, v84
	v_fmac_f64_e32 v[174:175], v[90:91], v[98:99]
	v_fmac_f64_e32 v[178:179], v[86:87], v[94:95]
	global_load_dwordx4 v[86:89], v84, s[4:5] offset:16
	global_load_dwordx4 v[90:93], v84, s[4:5]
	v_accvgpr_write_b32 a127, v101
	v_accvgpr_write_b32 a126, v100
	v_accvgpr_write_b32 a125, v99
	v_accvgpr_write_b32 a124, v98
	v_accvgpr_write_b32 a123, v97
	v_accvgpr_write_b32 a122, v96
	v_accvgpr_write_b32 a121, v95
	v_accvgpr_write_b32 a120, v94
	s_waitcnt vmcnt(1) lgkmcnt(12)
	v_mul_f64 v[186:187], v[76:77], v[88:89]
	s_waitcnt vmcnt(0)
	v_mul_f64 v[84:85], v[82:83], v[92:93]
	v_fma_f64 v[180:181], v[80:81], v[90:91], -v[84:85]
	v_mul_f64 v[182:183], v[80:81], v[92:93]
	v_mul_f64 v[80:81], v[78:79], v[88:89]
	v_fma_f64 v[184:185], v[76:77], v[86:87], -v[80:81]
	v_mul_u32_u24_sdwa v76, v219, s0 dst_sel:DWORD dst_unused:UNUSED_PAD src0_sel:WORD_0 src1_sel:DWORD
	v_lshrrev_b32_e32 v235, 20, v76
	v_mul_lo_u16_e32 v76, 17, v235
	v_sub_u16_e32 v236, v219, v76
	v_lshlrev_b16_e32 v76, 1, v236
	v_lshlrev_b32_e32 v76, 4, v76
	v_fmac_f64_e32 v[182:183], v[82:83], v[90:91]
	v_fmac_f64_e32 v[186:187], v[78:79], v[86:87]
	global_load_dwordx4 v[78:81], v76, s[4:5] offset:16
	global_load_dwordx4 v[82:85], v76, s[4:5]
	v_accvgpr_write_b32 a135, v93
	v_accvgpr_write_b32 a134, v92
	v_accvgpr_write_b32 a133, v91
	v_accvgpr_write_b32 a132, v90
	v_accvgpr_write_b32 a131, v89
	v_accvgpr_write_b32 a130, v88
	v_accvgpr_write_b32 a129, v87
	v_accvgpr_write_b32 a128, v86
	s_waitcnt vmcnt(1) lgkmcnt(9)
	;; [unrolled: 26-line block ×4, first 2 shown]
	v_mul_f64 v[210:211], v[52:53], v[64:65]
	s_waitcnt vmcnt(0)
	v_mul_f64 v[60:61], v[58:59], v[68:69]
	v_fma_f64 v[204:205], v[56:57], v[66:67], -v[60:61]
	v_mul_f64 v[206:207], v[56:57], v[68:69]
	v_mul_f64 v[56:57], v[54:55], v[64:65]
	v_fma_f64 v[208:209], v[52:53], v[62:63], -v[56:57]
	v_mul_u32_u24_sdwa v52, v217, s0 dst_sel:DWORD dst_unused:UNUSED_PAD src0_sel:WORD_0 src1_sel:DWORD
	v_lshrrev_b32_e32 v241, 20, v52
	v_mul_lo_u16_e32 v52, 17, v241
	v_sub_u16_e32 v242, v217, v52
	v_lshlrev_b16_e32 v52, 1, v242
	v_lshlrev_b32_e32 v52, 4, v52
	v_fmac_f64_e32 v[206:207], v[58:59], v[66:67]
	v_fmac_f64_e32 v[210:211], v[54:55], v[62:63]
	global_load_dwordx4 v[54:57], v52, s[4:5] offset:16
	global_load_dwordx4 v[58:61], v52, s[4:5]
	v_accvgpr_write_b32 a159, v69
	v_accvgpr_write_b32 a158, v68
	v_accvgpr_write_b32 a157, v67
	v_accvgpr_write_b32 a156, v66
	v_accvgpr_write_b32 a155, v65
	v_accvgpr_write_b32 a154, v64
	v_accvgpr_write_b32 a153, v63
	v_accvgpr_write_b32 a152, v62
	s_waitcnt lgkmcnt(0)
	; wave barrier
	s_waitcnt lgkmcnt(0)
	s_movk_i32 s0, 0xa0
	s_waitcnt vmcnt(1)
	v_mul_f64 v[252:253], v[44:45], v[56:57]
	s_waitcnt vmcnt(0)
	v_mul_f64 v[52:53], v[50:51], v[60:61]
	v_fma_f64 v[244:245], v[48:49], v[58:59], -v[52:53]
	v_mul_f64 v[246:247], v[48:49], v[60:61]
	v_mul_f64 v[48:49], v[46:47], v[56:57]
	v_fma_f64 v[250:251], v[44:45], v[54:55], -v[48:49]
	v_add_f64 v[44:45], v[40:41], v[132:133]
	v_add_f64 v[128:129], v[44:45], v[136:137]
	v_add_f64 v[44:45], v[132:133], v[136:137]
	v_fmac_f64_e32 v[40:41], -0.5, v[44:45]
	v_add_f64 v[44:45], v[134:135], -v[138:139]
	v_fma_f64 v[124:125], s[12:13], v[44:45], v[40:41]
	v_fmac_f64_e32 v[40:41], s[16:17], v[44:45]
	v_add_f64 v[44:45], v[42:43], v[134:135]
	v_add_f64 v[130:131], v[44:45], v[138:139]
	v_add_f64 v[44:45], v[134:135], v[138:139]
	v_fmac_f64_e32 v[42:43], -0.5, v[44:45]
	v_add_f64 v[44:45], v[132:133], -v[136:137]
	v_fma_f64 v[126:127], s[16:17], v[44:45], v[42:43]
	v_fmac_f64_e32 v[42:43], s[12:13], v[44:45]
	;; [unrolled: 7-line block ×16, first 2 shown]
	v_add_f64 v[44:45], v[8:9], v[196:197]
	v_add_f64 v[64:65], v[44:45], v[200:201]
	;; [unrolled: 1-line block ×3, first 2 shown]
	v_accvgpr_write_b32 a167, v61
	v_fmac_f64_e32 v[8:9], -0.5, v[44:45]
	v_add_f64 v[44:45], v[198:199], -v[202:203]
	v_accvgpr_write_b32 a166, v60
	v_accvgpr_write_b32 a165, v59
	;; [unrolled: 1-line block ×3, first 2 shown]
	v_fma_f64 v[60:61], s[12:13], v[44:45], v[8:9]
	v_fmac_f64_e32 v[8:9], s[16:17], v[44:45]
	v_add_f64 v[44:45], v[10:11], v[198:199]
	v_add_f64 v[66:67], v[44:45], v[202:203]
	v_add_f64 v[44:45], v[198:199], v[202:203]
	v_fmac_f64_e32 v[10:11], -0.5, v[44:45]
	v_add_f64 v[44:45], v[196:197], -v[200:201]
	v_accvgpr_write_b32 a163, v57
	v_fma_f64 v[62:63], s[16:17], v[44:45], v[10:11]
	v_fmac_f64_e32 v[10:11], s[12:13], v[44:45]
	v_add_f64 v[44:45], v[4:5], v[204:205]
	v_accvgpr_write_b32 a162, v56
	v_accvgpr_write_b32 a161, v55
	;; [unrolled: 1-line block ×3, first 2 shown]
	v_add_f64 v[56:57], v[44:45], v[208:209]
	v_add_f64 v[44:45], v[204:205], v[208:209]
	v_fmac_f64_e32 v[4:5], -0.5, v[44:45]
	v_add_f64 v[44:45], v[206:207], -v[210:211]
	v_fma_f64 v[52:53], s[12:13], v[44:45], v[4:5]
	v_fmac_f64_e32 v[4:5], s[16:17], v[44:45]
	v_add_f64 v[44:45], v[6:7], v[206:207]
	v_fmac_f64_e32 v[246:247], v[50:51], v[58:59]
	v_add_f64 v[58:59], v[44:45], v[210:211]
	v_add_f64 v[44:45], v[206:207], v[210:211]
	v_fmac_f64_e32 v[6:7], -0.5, v[44:45]
	v_add_f64 v[44:45], v[204:205], -v[208:209]
	v_fmac_f64_e32 v[252:253], v[46:47], v[54:55]
	v_fma_f64 v[54:55], s[16:17], v[44:45], v[6:7]
	v_fmac_f64_e32 v[6:7], s[12:13], v[44:45]
	v_add_f64 v[44:45], v[0:1], v[244:245]
	v_add_f64 v[48:49], v[44:45], v[250:251]
	;; [unrolled: 1-line block ×3, first 2 shown]
	v_fmac_f64_e32 v[0:1], -0.5, v[44:45]
	v_add_f64 v[46:47], v[246:247], -v[252:253]
	v_fma_f64 v[44:45], s[12:13], v[46:47], v[0:1]
	v_fmac_f64_e32 v[0:1], s[16:17], v[46:47]
	v_add_f64 v[46:47], v[2:3], v[246:247]
	v_add_f64 v[50:51], v[46:47], v[252:253]
	;; [unrolled: 1-line block ×3, first 2 shown]
	v_fmac_f64_e32 v[2:3], -0.5, v[46:47]
	v_add_f64 v[132:133], v[244:245], -v[250:251]
	v_fma_f64 v[46:47], s[16:17], v[132:133], v[2:3]
	v_fmac_f64_e32 v[2:3], s[12:13], v[132:133]
	v_mad_legacy_u16 v132, v229, 51, v231
	v_mov_b32_e32 v133, 4
	v_lshlrev_b32_sdwa v161, v133, v132 dst_sel:DWORD dst_unused:UNUSED_PAD src0_sel:DWORD src1_sel:BYTE_0
	ds_write_b128 v161, v[128:131]
	ds_write_b128 v161, v[124:127] offset:272
	ds_write_b128 v161, v[40:43] offset:544
	v_mul_u32_u24_e32 v40, 51, v212
	v_add_lshl_u32 v40, v40, v213, 4
	ds_write_b128 v40, v[120:123]
	ds_write_b128 v40, v[116:119] offset:272
	ds_write_b128 v40, v[36:39] offset:544
	v_mul_u32_u24_e32 v36, 51, v214
	v_add_lshl_u32 v36, v36, v215, 4
	ds_write_b128 v36, v[112:115]
	ds_write_b128 v36, v[108:111] offset:272
	ds_write_b128 v36, v[32:35] offset:544
	v_mul_u32_u24_e32 v32, 51, v225
	v_add_lshl_u32 v32, v32, v226, 4
	ds_write_b128 v32, v[104:107]
	ds_write_b128 v32, v[100:103] offset:272
	ds_write_b128 v32, v[28:31] offset:544
	v_mul_u32_u24_e32 v28, 51, v227
	v_add_lshl_u32 v28, v28, v228, 4
	ds_write_b128 v28, v[96:99]
	ds_write_b128 v28, v[92:95] offset:272
	ds_write_b128 v28, v[24:27] offset:544
	v_mad_legacy_u16 v24, v230, 51, v232
	v_lshlrev_b32_e32 v24, 4, v24
	buffer_store_dword v28, off, s[64:67], 0 offset:12 ; 4-byte Folded Spill
	ds_write_b128 v24, v[88:91]
	ds_write_b128 v24, v[84:87] offset:272
	ds_write_b128 v24, v[20:23] offset:544
	v_mad_legacy_u16 v20, v233, 51, v234
	v_lshlrev_b32_e32 v20, 4, v20
	buffer_store_dword v24, off, s[64:67], 0 offset:8 ; 4-byte Folded Spill
	ds_write_b128 v20, v[80:83]
	ds_write_b128 v20, v[76:79] offset:272
	ds_write_b128 v20, v[16:19] offset:544
	v_mad_legacy_u16 v16, v235, 51, v236
	v_lshlrev_b32_e32 v16, 4, v16
	buffer_store_dword v20, off, s[64:67], 0 offset:4 ; 4-byte Folded Spill
	ds_write_b128 v16, v[72:75]
	ds_write_b128 v16, v[68:71] offset:272
	ds_write_b128 v16, v[12:15] offset:544
	v_mad_legacy_u16 v12, v237, 51, v238
	v_lshlrev_b32_e32 v175, 4, v12
	buffer_store_dword v16, off, s[64:67], 0 ; 4-byte Folded Spill
	ds_write_b128 v175, v[64:67]
	ds_write_b128 v175, v[60:63] offset:272
	ds_write_b128 v175, v[8:11] offset:544
	v_mad_legacy_u16 v8, v239, 51, v240
	v_lshlrev_b32_e32 v174, 4, v8
	ds_write_b128 v174, v[56:59]
	ds_write_b128 v174, v[52:55] offset:272
	ds_write_b128 v174, v[4:7] offset:544
	v_mad_legacy_u16 v4, v241, 51, v242
	v_pk_mov_b32 v[132:133], s[4:5], s[4:5] op_sel:[0,1]
	v_lshlrev_b32_e32 v4, 4, v4
	v_mad_u64_u32 v[134:135], s[18:19], v216, s0, v[132:133]
	v_accvgpr_write_b32 a186, v40
	v_accvgpr_write_b32 a185, v36
	v_accvgpr_write_b32 a184, v32
	ds_write_b128 v4, v[48:51]
	ds_write_b128 v4, v[44:47] offset:272
	v_accvgpr_write_b32 a1, v4
	ds_write_b128 v4, v[0:3] offset:544
	s_waitcnt lgkmcnt(0)
	; wave barrier
	s_waitcnt lgkmcnt(0)
	ds_read_b128 v[8:11], v248
	ds_read_b128 v[128:131], v248 offset:2448
	ds_read_b128 v[124:127], v248 offset:4896
	ds_read_b128 v[120:123], v248 offset:7344
	ds_read_b128 v[116:119], v248 offset:9792
	ds_read_b128 v[112:115], v248 offset:12240
	ds_read_b128 v[108:111], v248 offset:14688
	ds_read_b128 v[104:107], v248 offset:17136
	ds_read_b128 v[100:103], v248 offset:19584
	ds_read_b128 v[96:99], v248 offset:22032
	ds_read_b128 v[92:95], v248 offset:24480
	ds_read_b128 v[16:19], v248 offset:816
	ds_read_b128 v[88:91], v248 offset:3264
	ds_read_b128 v[84:87], v248 offset:5712
	ds_read_b128 v[80:83], v248 offset:8160
	ds_read_b128 v[76:79], v248 offset:10608
	ds_read_b128 v[72:75], v248 offset:13056
	ds_read_b128 v[68:71], v248 offset:15504
	ds_read_b128 v[64:67], v248 offset:17952
	ds_read_b128 v[60:63], v248 offset:20400
	ds_read_b128 v[56:59], v248 offset:22848
	ds_read_b128 v[52:55], v248 offset:25296
	ds_read_b128 v[0:3], v248 offset:1632
	ds_read_b128 v[48:51], v248 offset:4080
	ds_read_b128 v[44:47], v248 offset:6528
	ds_read_b128 v[40:43], v248 offset:8976
	ds_read_b128 v[36:39], v248 offset:11424
	ds_read_b128 v[32:35], v248 offset:13872
	ds_read_b128 v[28:31], v248 offset:16320
	ds_read_b128 v[24:27], v248 offset:18768
	ds_read_b128 v[20:23], v248 offset:21216
	ds_read_b128 v[12:15], v248 offset:23664
	ds_read_b128 v[4:7], v248 offset:26112
	global_load_dwordx4 v[170:173], v[134:135], off offset:592
	global_load_dwordx4 v[176:179], v[134:135], off offset:576
	;; [unrolled: 1-line block ×4, first 2 shown]
	s_mov_b32 s18, 0x43842ef
	s_mov_b32 s19, 0xbfefac9e
	s_mov_b32 s40, s18
	v_accvgpr_read_b32 v160, a0
	s_waitcnt vmcnt(3) lgkmcnt(14)
	v_mul_f64 v[144:145], v[116:117], v[172:173]
	s_waitcnt vmcnt(2)
	v_mul_f64 v[152:153], v[120:121], v[178:179]
	s_waitcnt vmcnt(1)
	;; [unrolled: 2-line block ×3, first 2 shown]
	v_mul_f64 v[136:137], v[130:131], v[190:191]
	v_fma_f64 v[210:211], v[128:129], v[188:189], -v[136:137]
	v_mul_f64 v[208:209], v[128:129], v[190:191]
	v_mul_f64 v[128:129], v[126:127], v[182:183]
	v_fma_f64 v[202:203], v[124:125], v[180:181], -v[128:129]
	v_mul_f64 v[124:125], v[122:123], v[178:179]
	v_fma_f64 v[154:155], v[120:121], v[176:177], -v[124:125]
	v_mul_f64 v[120:121], v[118:119], v[172:173]
	v_fma_f64 v[146:147], v[116:117], v[170:171], -v[120:121]
	v_fmac_f64_e32 v[144:145], v[118:119], v[170:171]
	global_load_dwordx4 v[162:165], v[134:135], off offset:656
	global_load_dwordx4 v[166:169], v[134:135], off offset:640
	;; [unrolled: 1-line block ×6, first 2 shown]
	v_fmac_f64_e32 v[208:209], v[130:131], v[188:189]
	v_fmac_f64_e32 v[152:153], v[122:123], v[176:177]
	v_fmac_f64_e32 v[200:201], v[126:127], v[180:181]
	s_waitcnt vmcnt(5)
	v_mul_f64 v[156:157], v[100:101], v[164:165]
	s_waitcnt vmcnt(4)
	v_mul_f64 v[148:149], v[104:105], v[168:169]
	;; [unrolled: 2-line block ×4, first 2 shown]
	v_fma_f64 v[138:139], v[112:113], v[192:193], -v[116:117]
	v_mul_f64 v[136:137], v[112:113], v[194:195]
	v_mul_f64 v[112:113], v[110:111], v[120:121]
	v_fma_f64 v[142:143], v[108:109], v[118:119], -v[112:113]
	v_mul_f64 v[108:109], v[106:107], v[168:169]
	v_fma_f64 v[150:151], v[104:105], v[166:167], -v[108:109]
	;; [unrolled: 2-line block ×3, first 2 shown]
	s_waitcnt vmcnt(0)
	v_mul_f64 v[100:101], v[98:99], v[198:199]
	v_fma_f64 v[206:207], v[96:97], v[196:197], -v[100:101]
	v_mul_f64 v[204:205], v[96:97], v[198:199]
	v_mul_f64 v[96:97], v[94:95], v[186:187]
	v_fma_f64 v[214:215], v[92:93], v[184:185], -v[96:97]
	v_mul_f64 v[212:213], v[92:93], v[186:187]
	v_mul_f64 v[92:93], v[90:91], v[190:191]
	v_fmac_f64_e32 v[212:213], v[94:95], v[184:185]
	v_fma_f64 v[94:95], v[88:89], v[188:189], -v[92:93]
	v_mul_f64 v[92:93], v[88:89], v[190:191]
	v_mul_f64 v[88:89], v[86:87], v[182:183]
	v_fmac_f64_e32 v[92:93], v[90:91], v[188:189]
	;; [unrolled: 4-line block ×4, first 2 shown]
	v_fma_f64 v[82:83], v[76:77], v[170:171], -v[80:81]
	v_mul_f64 v[80:81], v[76:77], v[172:173]
	v_mul_f64 v[76:77], v[74:75], v[194:195]
	v_fma_f64 v[76:77], v[72:73], v[192:193], -v[76:77]
	v_mul_f64 v[72:73], v[72:73], v[194:195]
	v_fmac_f64_e32 v[72:73], v[74:75], v[192:193]
	v_mul_f64 v[74:75], v[70:71], v[120:121]
	v_fma_f64 v[74:75], v[68:69], v[118:119], -v[74:75]
	v_mul_f64 v[68:69], v[68:69], v[120:121]
	v_fmac_f64_e32 v[68:69], v[70:71], v[118:119]
	v_mul_f64 v[70:71], v[66:67], v[168:169]
	v_fma_f64 v[70:71], v[64:65], v[166:167], -v[70:71]
	v_mul_f64 v[64:65], v[64:65], v[168:169]
	v_fmac_f64_e32 v[64:65], v[66:67], v[166:167]
	s_waitcnt lgkmcnt(13)
	v_mul_f64 v[66:67], v[62:63], v[164:165]
	v_fma_f64 v[66:67], v[60:61], v[162:163], -v[66:67]
	v_mul_f64 v[60:61], v[60:61], v[164:165]
	v_fmac_f64_e32 v[60:61], v[62:63], v[162:163]
	s_waitcnt lgkmcnt(12)
	v_mul_f64 v[62:63], v[58:59], v[198:199]
	v_fma_f64 v[62:63], v[56:57], v[196:197], -v[62:63]
	v_mul_f64 v[56:57], v[56:57], v[198:199]
	v_fmac_f64_e32 v[56:57], v[58:59], v[196:197]
	s_waitcnt lgkmcnt(11)
	v_mul_f64 v[58:59], v[54:55], v[186:187]
	v_fmac_f64_e32 v[80:81], v[78:79], v[170:171]
	v_fma_f64 v[78:79], v[52:53], v[184:185], -v[58:59]
	v_mul_f64 v[58:59], v[52:53], v[186:187]
	v_mul_lo_u16_sdwa v52, v224, s1 dst_sel:DWORD dst_unused:UNUSED_PAD src0_sel:BYTE_0 src1_sel:DWORD
	v_lshrrev_b16_e32 v52, 13, v52
	v_mul_lo_u16_e32 v52, 51, v52
	v_sub_u16_e32 v52, v224, v52
	v_and_b32_e32 v225, 0xff, v52
	v_mad_u64_u32 v[52:53], s[0:1], v225, s0, v[132:133]
	v_fmac_f64_e32 v[140:141], v[110:111], v[118:119]
	v_fmac_f64_e32 v[148:149], v[106:107], v[166:167]
	;; [unrolled: 1-line block ×4, first 2 shown]
	global_load_dwordx4 v[96:99], v[52:53], off offset:592
	global_load_dwordx4 v[100:103], v[52:53], off offset:576
	;; [unrolled: 1-line block ×4, first 2 shown]
	v_fmac_f64_e32 v[58:59], v[54:55], v[184:185]
	v_accvgpr_write_b32 a179, v121
	v_accvgpr_write_b32 a178, v120
	v_accvgpr_write_b32 a177, v119
	v_accvgpr_write_b32 a176, v118
	v_fmac_f64_e32 v[136:137], v[114:115], v[192:193]
	s_mov_b32 s0, 0x640f44db
	s_mov_b32 s1, 0xbfc2375f
	s_waitcnt vmcnt(3)
	v_accvgpr_write_b32 a191, v99
	s_waitcnt vmcnt(2) lgkmcnt(7)
	v_mul_f64 v[112:113], v[40:41], v[102:103]
	s_waitcnt vmcnt(1)
	v_mul_f64 v[120:121], v[44:45], v[106:107]
	s_waitcnt vmcnt(0)
	v_mul_f64 v[54:55], v[50:51], v[110:111]
	v_fma_f64 v[130:131], v[48:49], v[108:109], -v[54:55]
	v_mul_f64 v[128:129], v[48:49], v[110:111]
	v_mul_f64 v[48:49], v[46:47], v[106:107]
	v_fma_f64 v[122:123], v[44:45], v[104:105], -v[48:49]
	v_accvgpr_write_b32 a199, v107
	v_mul_f64 v[44:45], v[42:43], v[102:103]
	v_accvgpr_write_b32 a198, v106
	v_accvgpr_write_b32 a197, v105
	;; [unrolled: 1-line block ×3, first 2 shown]
	v_fmac_f64_e32 v[120:121], v[46:47], v[104:105]
	v_fma_f64 v[114:115], v[40:41], v[100:101], -v[44:45]
	v_accvgpr_write_b32 a195, v103
	s_waitcnt lgkmcnt(6)
	v_mul_f64 v[40:41], v[38:39], v[98:99]
	v_mul_f64 v[104:105], v[36:37], v[98:99]
	v_accvgpr_write_b32 a194, v102
	v_accvgpr_write_b32 a193, v101
	;; [unrolled: 1-line block ×3, first 2 shown]
	v_fmac_f64_e32 v[112:113], v[42:43], v[100:101]
	v_fma_f64 v[106:107], v[36:37], v[96:97], -v[40:41]
	v_fmac_f64_e32 v[104:105], v[38:39], v[96:97]
	global_load_dwordx4 v[38:41], v[52:53], off offset:656
	global_load_dwordx4 v[42:45], v[52:53], off offset:640
	;; [unrolled: 1-line block ×4, first 2 shown]
	v_accvgpr_write_b32 a190, v98
	v_accvgpr_write_b32 a189, v97
	;; [unrolled: 1-line block ×7, first 2 shown]
	v_fmac_f64_e32 v[128:129], v[50:51], v[108:109]
	s_waitcnt vmcnt(3) lgkmcnt(2)
	v_mul_f64 v[116:117], v[20:21], v[40:41]
	s_waitcnt vmcnt(2)
	v_mul_f64 v[108:109], v[24:25], v[44:45]
	v_fmac_f64_e32 v[108:109], v[26:27], v[42:43]
	s_waitcnt vmcnt(0)
	v_mul_f64 v[36:37], v[34:35], v[102:103]
	v_fma_f64 v[98:99], v[32:33], v[100:101], -v[36:37]
	v_mul_f64 v[96:97], v[32:33], v[102:103]
	v_accvgpr_write_b32 a219, v103
	v_mul_f64 v[32:33], v[30:31], v[48:49]
	v_accvgpr_write_b32 a218, v102
	v_accvgpr_write_b32 a217, v101
	;; [unrolled: 1-line block ×3, first 2 shown]
	v_fmac_f64_e32 v[96:97], v[34:35], v[100:101]
	v_fma_f64 v[102:103], v[28:29], v[46:47], -v[32:33]
	v_mul_f64 v[100:101], v[28:29], v[48:49]
	v_mul_f64 v[28:29], v[26:27], v[44:45]
	v_fma_f64 v[110:111], v[24:25], v[42:43], -v[28:29]
	v_mul_f64 v[24:25], v[22:23], v[40:41]
	v_fma_f64 v[118:119], v[20:21], v[38:39], -v[24:25]
	v_fmac_f64_e32 v[116:117], v[22:23], v[38:39]
	global_load_dwordx4 v[22:25], v[52:53], off offset:688
	global_load_dwordx4 v[26:29], v[52:53], off offset:672
	v_accvgpr_write_b32 a215, v49
	v_accvgpr_write_b32 a207, v41
	;; [unrolled: 1-line block ×12, first 2 shown]
	v_fmac_f64_e32 v[100:101], v[30:31], v[46:47]
	s_waitcnt lgkmcnt(0)
	; wave barrier
	s_waitcnt vmcnt(1) lgkmcnt(0)
	v_mul_f64 v[132:133], v[4:5], v[24:25]
	s_waitcnt vmcnt(0)
	v_mul_f64 v[20:21], v[14:15], v[28:29]
	v_fma_f64 v[126:127], v[12:13], v[26:27], -v[20:21]
	v_mul_f64 v[124:125], v[12:13], v[28:29]
	v_mul_f64 v[12:13], v[6:7], v[24:25]
	v_accvgpr_write_b32 a223, v25
	v_fma_f64 v[134:135], v[4:5], v[22:23], -v[12:13]
	v_accvgpr_write_b32 a222, v24
	v_accvgpr_write_b32 a221, v23
	v_accvgpr_write_b32 a220, v22
	v_fmac_f64_e32 v[132:133], v[6:7], v[22:23]
	v_add_f64 v[22:23], v[208:209], -v[212:213]
	v_accvgpr_write_b32 a227, v29
	v_add_f64 v[6:7], v[10:11], v[208:209]
	v_add_f64 v[12:13], v[210:211], v[214:215]
	v_add_f64 v[20:21], v[210:211], -v[214:215]
	v_mul_f64 v[24:25], v[22:23], s[30:31]
	v_mul_f64 v[32:33], v[22:23], s[42:43]
	;; [unrolled: 1-line block ×5, first 2 shown]
	v_accvgpr_write_b32 a226, v28
	v_accvgpr_write_b32 a225, v27
	;; [unrolled: 1-line block ×3, first 2 shown]
	v_fmac_f64_e32 v[124:125], v[14:15], v[26:27]
	v_add_f64 v[6:7], v[6:7], v[200:201]
	v_add_f64 v[14:15], v[208:209], v[212:213]
	v_fma_f64 v[26:27], v[12:13], s[22:23], -v[24:25]
	v_mul_f64 v[28:29], v[20:21], s[30:31]
	v_fmac_f64_e32 v[24:25], s[22:23], v[12:13]
	v_fma_f64 v[34:35], v[12:13], s[20:21], -v[32:33]
	v_mul_f64 v[36:37], v[20:21], s[42:43]
	v_fmac_f64_e32 v[32:33], s[20:21], v[12:13]
	;; [unrolled: 3-line block ×5, first 2 shown]
	v_add_f64 v[4:5], v[8:9], v[210:211]
	v_add_f64 v[6:7], v[6:7], v[152:153]
	;; [unrolled: 1-line block ×3, first 2 shown]
	v_fma_f64 v[30:31], s[22:23], v[14:15], v[28:29]
	v_add_f64 v[24:25], v[8:9], v[24:25]
	v_fma_f64 v[28:29], v[14:15], s[22:23], -v[28:29]
	v_add_f64 v[34:35], v[8:9], v[34:35]
	v_fma_f64 v[38:39], s[20:21], v[14:15], v[36:37]
	v_add_f64 v[32:33], v[8:9], v[32:33]
	v_fma_f64 v[36:37], v[14:15], s[20:21], -v[36:37]
	v_add_f64 v[42:43], v[8:9], v[42:43]
	;; [unrolled: 4-line block ×4, first 2 shown]
	v_fma_f64 v[210:211], s[28:29], v[14:15], v[20:21]
	v_add_f64 v[8:9], v[8:9], v[22:23]
	v_fma_f64 v[12:13], v[14:15], s[28:29], -v[20:21]
	v_add_f64 v[22:23], v[200:201], -v[204:205]
	v_add_f64 v[6:7], v[6:7], v[144:145]
	v_add_f64 v[30:31], v[10:11], v[30:31]
	;; [unrolled: 1-line block ×13, first 2 shown]
	v_mul_f64 v[200:201], v[22:23], s[42:43]
	v_add_f64 v[4:5], v[4:5], v[202:203]
	v_add_f64 v[6:7], v[6:7], v[136:137]
	v_add_f64 v[20:21], v[202:203], -v[206:207]
	v_fma_f64 v[202:203], v[12:13], s[20:21], -v[200:201]
	v_add_f64 v[6:7], v[6:7], v[140:141]
	v_add_f64 v[26:27], v[202:203], v[26:27]
	v_mul_f64 v[202:203], v[20:21], s[42:43]
	v_fmac_f64_e32 v[200:201], s[20:21], v[12:13]
	v_add_f64 v[6:7], v[6:7], v[148:149]
	v_add_f64 v[24:25], v[200:201], v[24:25]
	v_fma_f64 v[200:201], v[14:15], s[20:21], -v[202:203]
	v_add_f64 v[6:7], v[6:7], v[156:157]
	v_add_f64 v[28:29], v[200:201], v[28:29]
	v_mul_f64 v[200:201], v[22:23], s[26:27]
	v_add_f64 v[6:7], v[6:7], v[204:205]
	v_fma_f64 v[204:205], s[20:21], v[14:15], v[202:203]
	v_fma_f64 v[202:203], v[12:13], s[24:25], -v[200:201]
	v_add_f64 v[34:35], v[202:203], v[34:35]
	v_mul_f64 v[202:203], v[20:21], s[26:27]
	v_fmac_f64_e32 v[200:201], s[24:25], v[12:13]
	v_add_f64 v[32:33], v[200:201], v[32:33]
	v_fma_f64 v[200:201], v[14:15], s[24:25], -v[202:203]
	v_add_f64 v[36:37], v[200:201], v[36:37]
	v_mul_f64 v[200:201], v[22:23], s[44:45]
	v_add_f64 v[30:31], v[204:205], v[30:31]
	v_fma_f64 v[204:205], s[24:25], v[14:15], v[202:203]
	v_fma_f64 v[202:203], v[12:13], s[28:29], -v[200:201]
	v_add_f64 v[42:43], v[202:203], v[42:43]
	v_mul_f64 v[202:203], v[20:21], s[44:45]
	v_fmac_f64_e32 v[200:201], s[28:29], v[12:13]
	v_add_f64 v[40:41], v[200:201], v[40:41]
	v_fma_f64 v[200:201], v[14:15], s[28:29], -v[202:203]
	;; [unrolled: 10-line block ×3, first 2 shown]
	v_mul_f64 v[22:23], v[22:23], s[38:39]
	v_add_f64 v[52:53], v[200:201], v[52:53]
	v_fma_f64 v[200:201], v[12:13], s[22:23], -v[22:23]
	v_mul_f64 v[20:21], v[20:21], s[38:39]
	v_fmac_f64_e32 v[22:23], s[22:23], v[12:13]
	v_add_f64 v[8:9], v[22:23], v[8:9]
	v_fma_f64 v[12:13], v[14:15], s[22:23], -v[20:21]
	v_add_f64 v[22:23], v[152:153], -v[156:157]
	v_add_f64 v[46:47], v[204:205], v[46:47]
	v_fma_f64 v[204:205], s[0:1], v[14:15], v[202:203]
	v_fma_f64 v[202:203], s[22:23], v[14:15], v[20:21]
	v_add_f64 v[10:11], v[12:13], v[10:11]
	v_add_f64 v[12:13], v[154:155], v[158:159]
	;; [unrolled: 1-line block ×3, first 2 shown]
	v_mul_f64 v[152:153], v[22:23], s[18:19]
	v_add_f64 v[4:5], v[4:5], v[154:155]
	v_add_f64 v[20:21], v[154:155], -v[158:159]
	v_fma_f64 v[154:155], v[12:13], s[0:1], -v[152:153]
	v_add_f64 v[26:27], v[154:155], v[26:27]
	v_mul_f64 v[154:155], v[20:21], s[18:19]
	v_fmac_f64_e32 v[152:153], s[0:1], v[12:13]
	v_add_f64 v[24:25], v[152:153], v[24:25]
	v_fma_f64 v[152:153], v[14:15], s[0:1], -v[154:155]
	v_add_f64 v[28:29], v[152:153], v[28:29]
	v_mul_f64 v[152:153], v[22:23], s[44:45]
	v_fma_f64 v[156:157], s[0:1], v[14:15], v[154:155]
	v_fma_f64 v[154:155], v[12:13], s[28:29], -v[152:153]
	v_add_f64 v[34:35], v[154:155], v[34:35]
	v_mul_f64 v[154:155], v[20:21], s[44:45]
	v_fmac_f64_e32 v[152:153], s[28:29], v[12:13]
	v_add_f64 v[32:33], v[152:153], v[32:33]
	v_fma_f64 v[152:153], v[14:15], s[28:29], -v[154:155]
	v_add_f64 v[36:37], v[152:153], v[36:37]
	v_mul_f64 v[152:153], v[22:23], s[36:37]
	v_add_f64 v[30:31], v[156:157], v[30:31]
	v_fma_f64 v[156:157], s[28:29], v[14:15], v[154:155]
	v_fma_f64 v[154:155], v[12:13], s[20:21], -v[152:153]
	v_add_f64 v[42:43], v[154:155], v[42:43]
	v_mul_f64 v[154:155], v[20:21], s[36:37]
	v_fmac_f64_e32 v[152:153], s[20:21], v[12:13]
	v_add_f64 v[40:41], v[152:153], v[40:41]
	v_fma_f64 v[152:153], v[14:15], s[20:21], -v[154:155]
	v_add_f64 v[44:45], v[152:153], v[44:45]
	v_mul_f64 v[152:153], v[22:23], s[30:31]
	v_add_f64 v[38:39], v[156:157], v[38:39]
	v_fma_f64 v[156:157], s[20:21], v[14:15], v[154:155]
	v_fma_f64 v[154:155], v[12:13], s[22:23], -v[152:153]
	v_add_f64 v[50:51], v[154:155], v[50:51]
	v_mul_f64 v[154:155], v[20:21], s[30:31]
	v_fmac_f64_e32 v[152:153], s[22:23], v[12:13]
	v_add_f64 v[48:49], v[152:153], v[48:49]
	v_fma_f64 v[152:153], v[14:15], s[22:23], -v[154:155]
	v_mul_f64 v[22:23], v[22:23], s[26:27]
	v_mul_f64 v[20:21], v[20:21], s[26:27]
	v_add_f64 v[46:47], v[156:157], v[46:47]
	v_fma_f64 v[156:157], s[22:23], v[14:15], v[154:155]
	v_add_f64 v[52:53], v[152:153], v[52:53]
	v_fma_f64 v[152:153], v[12:13], s[24:25], -v[22:23]
	v_fma_f64 v[154:155], s[24:25], v[14:15], v[20:21]
	v_fmac_f64_e32 v[22:23], s[24:25], v[12:13]
	v_fma_f64 v[12:13], v[14:15], s[24:25], -v[20:21]
	v_add_f64 v[14:15], v[144:145], v[148:149]
	v_add_f64 v[144:145], v[144:145], -v[148:149]
	v_add_f64 v[10:11], v[12:13], v[10:11]
	v_add_f64 v[12:13], v[146:147], v[150:151]
	v_mul_f64 v[20:21], v[144:145], s[26:27]
	v_add_f64 v[4:5], v[4:5], v[146:147]
	v_add_f64 v[8:9], v[22:23], v[8:9]
	v_add_f64 v[146:147], v[146:147], -v[150:151]
	v_fma_f64 v[22:23], v[12:13], s[24:25], -v[20:21]
	v_add_f64 v[4:5], v[4:5], v[138:139]
	v_add_f64 v[26:27], v[22:23], v[26:27]
	v_mul_f64 v[22:23], v[146:147], s[26:27]
	v_fmac_f64_e32 v[20:21], s[24:25], v[12:13]
	v_add_f64 v[4:5], v[4:5], v[142:143]
	v_add_f64 v[24:25], v[20:21], v[24:25]
	v_fma_f64 v[20:21], v[14:15], s[24:25], -v[22:23]
	v_add_f64 v[4:5], v[4:5], v[150:151]
	v_add_f64 v[150:151], v[20:21], v[28:29]
	v_mul_f64 v[20:21], v[144:145], s[40:41]
	v_add_f64 v[54:55], v[204:205], v[54:55]
	v_fma_f64 v[148:149], s[24:25], v[14:15], v[22:23]
	v_fma_f64 v[22:23], v[12:13], s[0:1], -v[20:21]
	v_add_f64 v[54:55], v[156:157], v[54:55]
	v_add_f64 v[156:157], v[22:23], v[34:35]
	v_mul_f64 v[22:23], v[146:147], s[40:41]
	v_fmac_f64_e32 v[20:21], s[0:1], v[12:13]
	v_fma_f64 v[28:29], s[0:1], v[14:15], v[22:23]
	v_add_f64 v[20:21], v[20:21], v[32:33]
	v_mul_f64 v[32:33], v[144:145], s[30:31]
	v_add_f64 v[4:5], v[4:5], v[158:159]
	v_add_f64 v[158:159], v[28:29], v[38:39]
	v_fma_f64 v[28:29], v[12:13], s[22:23], -v[32:33]
	v_fmac_f64_e32 v[32:33], s[22:23], v[12:13]
	v_fma_f64 v[22:23], v[14:15], s[0:1], -v[22:23]
	v_add_f64 v[32:33], v[32:33], v[40:41]
	v_mul_f64 v[40:41], v[144:145], s[34:35]
	v_add_f64 v[22:23], v[22:23], v[36:37]
	v_mul_f64 v[34:35], v[146:147], s[30:31]
	v_fma_f64 v[36:37], v[12:13], s[28:29], -v[40:41]
	v_fmac_f64_e32 v[40:41], s[28:29], v[12:13]
	v_add_f64 v[148:149], v[148:149], v[30:31]
	v_add_f64 v[28:29], v[28:29], v[42:43]
	v_fma_f64 v[30:31], s[22:23], v[14:15], v[34:35]
	v_fma_f64 v[34:35], v[14:15], s[22:23], -v[34:35]
	v_mul_f64 v[42:43], v[146:147], s[34:35]
	v_add_f64 v[40:41], v[40:41], v[48:49]
	v_mul_f64 v[48:49], v[144:145], s[36:37]
	v_add_f64 v[34:35], v[34:35], v[44:45]
	v_add_f64 v[36:37], v[36:37], v[50:51]
	v_fma_f64 v[38:39], s[28:29], v[14:15], v[42:43]
	v_fma_f64 v[42:43], v[14:15], s[28:29], -v[42:43]
	v_fma_f64 v[44:45], v[12:13], s[20:21], -v[48:49]
	v_mul_f64 v[50:51], v[146:147], s[36:37]
	v_fmac_f64_e32 v[48:49], s[20:21], v[12:13]
	v_add_f64 v[42:43], v[42:43], v[52:53]
	v_add_f64 v[48:49], v[48:49], v[8:9]
	v_fma_f64 v[8:9], v[14:15], s[20:21], -v[50:51]
	v_add_f64 v[52:53], v[136:137], v[140:141]
	v_add_f64 v[136:137], v[136:137], -v[140:141]
	v_add_f64 v[30:31], v[30:31], v[46:47]
	v_add_f64 v[38:39], v[38:39], v[54:55]
	v_fma_f64 v[46:47], s[20:21], v[14:15], v[50:51]
	v_add_f64 v[50:51], v[8:9], v[10:11]
	v_add_f64 v[54:55], v[138:139], v[142:143]
	v_mul_f64 v[8:9], v[136:137], s[34:35]
	v_add_f64 v[138:139], v[138:139], -v[142:143]
	v_fma_f64 v[10:11], v[54:55], s[28:29], -v[8:9]
	v_fmac_f64_e32 v[8:9], s[28:29], v[54:55]
	v_mul_f64 v[140:141], v[136:137], s[38:39]
	v_add_f64 v[8:9], v[8:9], v[24:25]
	v_fma_f64 v[24:25], v[54:55], s[22:23], -v[140:141]
	v_mul_f64 v[142:143], v[138:139], s[38:39]
	v_fmac_f64_e32 v[140:141], s[22:23], v[54:55]
	v_add_f64 v[20:21], v[140:141], v[20:21]
	v_fma_f64 v[140:141], v[52:53], s[22:23], -v[142:143]
	v_add_f64 v[22:23], v[140:141], v[22:23]
	v_mul_f64 v[140:141], v[136:137], s[26:27]
	v_add_f64 v[12:13], v[10:11], v[26:27]
	v_fma_f64 v[26:27], s[22:23], v[52:53], v[142:143]
	v_fma_f64 v[142:143], v[54:55], s[24:25], -v[140:141]
	v_add_f64 v[28:29], v[142:143], v[28:29]
	v_mul_f64 v[142:143], v[138:139], s[26:27]
	v_fmac_f64_e32 v[140:141], s[24:25], v[54:55]
	v_add_f64 v[32:33], v[140:141], v[32:33]
	v_fma_f64 v[140:141], v[52:53], s[24:25], -v[142:143]
	v_add_f64 v[34:35], v[140:141], v[34:35]
	v_mul_f64 v[140:141], v[136:137], s[36:37]
	v_fma_f64 v[144:145], s[24:25], v[52:53], v[142:143]
	v_fma_f64 v[142:143], v[54:55], s[20:21], -v[140:141]
	v_add_f64 v[200:201], v[200:201], v[208:209]
	v_add_f64 v[36:37], v[142:143], v[36:37]
	v_mul_f64 v[142:143], v[138:139], s[36:37]
	v_fmac_f64_e32 v[140:141], s[20:21], v[54:55]
	v_add_f64 v[152:153], v[152:153], v[200:201]
	v_add_f64 v[40:41], v[140:141], v[40:41]
	v_fma_f64 v[140:141], v[52:53], s[20:21], -v[142:143]
	v_mul_f64 v[136:137], v[136:137], s[18:19]
	v_add_f64 v[44:45], v[44:45], v[152:153]
	v_mul_f64 v[10:11], v[138:139], s[34:35]
	v_add_f64 v[42:43], v[140:141], v[42:43]
	v_fma_f64 v[140:141], v[54:55], s[0:1], -v[136:137]
	v_mul_f64 v[138:139], v[138:139], s[18:19]
	v_fma_f64 v[14:15], s[28:29], v[52:53], v[10:11]
	v_fma_f64 v[10:11], v[52:53], s[28:29], -v[10:11]
	v_add_f64 v[30:31], v[144:145], v[30:31]
	v_fma_f64 v[144:145], s[20:21], v[52:53], v[142:143]
	v_add_f64 v[44:45], v[140:141], v[44:45]
	v_fma_f64 v[140:141], s[0:1], v[52:53], v[138:139]
	v_fmac_f64_e32 v[136:137], s[0:1], v[54:55]
	v_fma_f64 v[52:53], v[52:53], s[0:1], -v[138:139]
	v_add_f64 v[54:55], v[18:19], v[92:93]
	v_add_f64 v[50:51], v[52:53], v[50:51]
	;; [unrolled: 1-line block ×23, first 2 shown]
	v_add_f64 v[58:59], v[92:93], -v[58:59]
	v_add_f64 v[46:47], v[46:47], v[154:155]
	v_add_f64 v[38:39], v[144:145], v[38:39]
	;; [unrolled: 1-line block ×5, first 2 shown]
	v_add_f64 v[78:79], v[94:95], -v[78:79]
	v_mul_f64 v[92:93], v[58:59], s[30:31]
	v_mul_f64 v[144:145], v[58:59], s[42:43]
	;; [unrolled: 1-line block ×5, first 2 shown]
	v_add_f64 v[14:15], v[14:15], v[148:149]
	v_add_f64 v[24:25], v[24:25], v[156:157]
	v_add_f64 v[46:47], v[140:141], v[46:47]
	v_fma_f64 v[94:95], v[136:137], s[22:23], -v[92:93]
	v_mul_f64 v[140:141], v[78:79], s[30:31]
	v_fmac_f64_e32 v[92:93], s[22:23], v[136:137]
	v_fma_f64 v[146:147], v[136:137], s[20:21], -v[144:145]
	v_mul_f64 v[148:149], v[78:79], s[42:43]
	v_fmac_f64_e32 v[144:145], s[20:21], v[136:137]
	;; [unrolled: 3-line block ×5, first 2 shown]
	v_add_f64 v[4:5], v[4:5], v[206:207]
	v_add_f64 v[10:11], v[10:11], v[150:151]
	;; [unrolled: 1-line block ×4, first 2 shown]
	v_fma_f64 v[142:143], s[22:23], v[138:139], v[140:141]
	v_add_f64 v[92:93], v[16:17], v[92:93]
	v_fma_f64 v[140:141], v[138:139], s[22:23], -v[140:141]
	v_add_f64 v[146:147], v[16:17], v[146:147]
	v_fma_f64 v[150:151], s[20:21], v[138:139], v[148:149]
	v_add_f64 v[144:145], v[16:17], v[144:145]
	v_fma_f64 v[148:149], v[138:139], s[20:21], -v[148:149]
	v_add_f64 v[154:155], v[16:17], v[154:155]
	;; [unrolled: 4-line block ×5, first 2 shown]
	v_add_f64 v[56:57], v[88:89], -v[56:57]
	v_add_f64 v[142:143], v[18:19], v[142:143]
	v_add_f64 v[140:141], v[18:19], v[140:141]
	;; [unrolled: 1-line block ×11, first 2 shown]
	v_mul_f64 v[88:89], v[56:57], s[42:43]
	v_add_f64 v[62:63], v[90:91], -v[62:63]
	v_fma_f64 v[90:91], v[58:59], s[20:21], -v[88:89]
	v_add_f64 v[90:91], v[90:91], v[94:95]
	v_mul_f64 v[94:95], v[62:63], s[42:43]
	v_fmac_f64_e32 v[88:89], s[20:21], v[58:59]
	v_fma_f64 v[136:137], s[20:21], v[78:79], v[94:95]
	v_add_f64 v[88:89], v[88:89], v[92:93]
	v_fma_f64 v[92:93], v[78:79], s[20:21], -v[94:95]
	v_mul_f64 v[94:95], v[56:57], s[26:27]
	v_fma_f64 v[138:139], v[58:59], s[24:25], -v[94:95]
	v_fmac_f64_e32 v[94:95], s[24:25], v[58:59]
	v_add_f64 v[92:93], v[92:93], v[140:141]
	v_mul_f64 v[140:141], v[62:63], s[26:27]
	v_add_f64 v[94:95], v[94:95], v[144:145]
	v_mul_f64 v[144:145], v[56:57], s[44:45]
	v_add_f64 v[136:137], v[136:137], v[142:143]
	v_add_f64 v[138:139], v[138:139], v[146:147]
	v_fma_f64 v[142:143], s[24:25], v[78:79], v[140:141]
	v_fma_f64 v[140:141], v[78:79], s[24:25], -v[140:141]
	v_fma_f64 v[146:147], v[58:59], s[28:29], -v[144:145]
	v_fmac_f64_e32 v[144:145], s[28:29], v[58:59]
	v_add_f64 v[140:141], v[140:141], v[148:149]
	v_mul_f64 v[148:149], v[62:63], s[44:45]
	v_add_f64 v[144:145], v[144:145], v[152:153]
	v_mul_f64 v[152:153], v[56:57], s[40:41]
	v_add_f64 v[142:143], v[142:143], v[150:151]
	v_add_f64 v[146:147], v[146:147], v[154:155]
	v_fma_f64 v[150:151], s[28:29], v[78:79], v[148:149]
	v_fma_f64 v[148:149], v[78:79], s[28:29], -v[148:149]
	v_fma_f64 v[154:155], v[58:59], s[0:1], -v[152:153]
	v_fmac_f64_e32 v[152:153], s[0:1], v[58:59]
	v_mul_f64 v[56:57], v[56:57], s[38:39]
	v_add_f64 v[148:149], v[148:149], v[156:157]
	v_mul_f64 v[156:157], v[62:63], s[40:41]
	v_add_f64 v[152:153], v[152:153], v[200:201]
	v_fma_f64 v[200:201], v[58:59], s[22:23], -v[56:57]
	v_mul_f64 v[62:63], v[62:63], s[38:39]
	v_fmac_f64_e32 v[56:57], s[22:23], v[58:59]
	v_add_f64 v[16:17], v[56:57], v[16:17]
	v_fma_f64 v[56:57], v[78:79], s[22:23], -v[62:63]
	v_add_f64 v[58:59], v[84:85], v[60:61]
	v_add_f64 v[60:61], v[84:85], -v[60:61]
	v_add_f64 v[154:155], v[154:155], v[202:203]
	v_fma_f64 v[202:203], s[22:23], v[78:79], v[62:63]
	v_add_f64 v[18:19], v[56:57], v[18:19]
	v_add_f64 v[56:57], v[86:87], v[66:67]
	v_add_f64 v[62:63], v[86:87], -v[66:67]
	v_mul_f64 v[66:67], v[60:61], s[18:19]
	v_add_f64 v[150:151], v[150:151], v[158:159]
	v_fma_f64 v[158:159], s[0:1], v[78:79], v[156:157]
	v_fma_f64 v[156:157], v[78:79], s[0:1], -v[156:157]
	v_fma_f64 v[78:79], v[56:57], s[0:1], -v[66:67]
	v_fmac_f64_e32 v[66:67], s[0:1], v[56:57]
	v_mul_f64 v[84:85], v[62:63], s[18:19]
	v_add_f64 v[66:67], v[66:67], v[88:89]
	v_mul_f64 v[88:89], v[60:61], s[44:45]
	v_add_f64 v[78:79], v[78:79], v[90:91]
	v_fma_f64 v[86:87], s[0:1], v[58:59], v[84:85]
	v_fma_f64 v[84:85], v[58:59], s[0:1], -v[84:85]
	v_fma_f64 v[90:91], v[56:57], s[28:29], -v[88:89]
	v_fmac_f64_e32 v[88:89], s[28:29], v[56:57]
	v_add_f64 v[84:85], v[84:85], v[92:93]
	v_mul_f64 v[92:93], v[62:63], s[44:45]
	v_add_f64 v[88:89], v[88:89], v[94:95]
	v_mul_f64 v[94:95], v[60:61], s[36:37]
	v_add_f64 v[86:87], v[86:87], v[136:137]
	v_add_f64 v[90:91], v[90:91], v[138:139]
	v_fma_f64 v[136:137], s[28:29], v[58:59], v[92:93]
	v_fma_f64 v[92:93], v[58:59], s[28:29], -v[92:93]
	v_fma_f64 v[138:139], v[56:57], s[20:21], -v[94:95]
	v_fmac_f64_e32 v[94:95], s[20:21], v[56:57]
	v_add_f64 v[92:93], v[92:93], v[140:141]
	v_mul_f64 v[140:141], v[62:63], s[36:37]
	v_add_f64 v[94:95], v[94:95], v[144:145]
	v_mul_f64 v[144:145], v[60:61], s[30:31]
	v_add_f64 v[136:137], v[136:137], v[142:143]
	v_add_f64 v[138:139], v[138:139], v[146:147]
	v_fma_f64 v[142:143], s[20:21], v[58:59], v[140:141]
	v_fma_f64 v[140:141], v[58:59], s[20:21], -v[140:141]
	v_fma_f64 v[146:147], v[56:57], s[22:23], -v[144:145]
	v_add_f64 v[140:141], v[140:141], v[148:149]
	v_add_f64 v[148:149], v[146:147], v[154:155]
	v_mul_f64 v[146:147], v[62:63], s[30:31]
	v_add_f64 v[156:157], v[156:157], v[204:205]
	v_add_f64 v[142:143], v[142:143], v[150:151]
	v_fma_f64 v[150:151], s[22:23], v[58:59], v[146:147]
	v_fmac_f64_e32 v[144:145], s[22:23], v[56:57]
	v_fma_f64 v[146:147], v[58:59], s[22:23], -v[146:147]
	v_mul_f64 v[60:61], v[60:61], s[26:27]
	v_add_f64 v[200:201], v[200:201], v[208:209]
	v_add_f64 v[144:145], v[144:145], v[152:153]
	;; [unrolled: 1-line block ×3, first 2 shown]
	v_fma_f64 v[146:147], v[56:57], s[24:25], -v[60:61]
	v_mul_f64 v[62:63], v[62:63], s[26:27]
	v_add_f64 v[154:155], v[146:147], v[200:201]
	v_fma_f64 v[146:147], s[24:25], v[58:59], v[62:63]
	v_fmac_f64_e32 v[60:61], s[24:25], v[56:57]
	v_fma_f64 v[56:57], v[58:59], s[24:25], -v[62:63]
	v_add_f64 v[62:63], v[80:81], -v[64:65]
	v_add_f64 v[18:19], v[56:57], v[18:19]
	v_add_f64 v[56:57], v[82:83], v[70:71]
	;; [unrolled: 1-line block ×3, first 2 shown]
	v_mul_f64 v[64:65], v[62:63], s[26:27]
	v_add_f64 v[158:159], v[158:159], v[206:207]
	v_add_f64 v[16:17], v[60:61], v[16:17]
	v_add_f64 v[60:61], v[82:83], -v[70:71]
	v_fma_f64 v[70:71], v[56:57], s[24:25], -v[64:65]
	v_add_f64 v[150:151], v[150:151], v[158:159]
	v_add_f64 v[158:159], v[70:71], v[78:79]
	v_mul_f64 v[70:71], v[60:61], s[26:27]
	v_fmac_f64_e32 v[64:65], s[24:25], v[56:57]
	v_fma_f64 v[78:79], s[24:25], v[58:59], v[70:71]
	v_add_f64 v[64:65], v[64:65], v[66:67]
	v_fma_f64 v[66:67], v[58:59], s[24:25], -v[70:71]
	v_mul_f64 v[70:71], v[62:63], s[40:41]
	v_add_f64 v[202:203], v[202:203], v[210:211]
	v_add_f64 v[200:201], v[78:79], v[86:87]
	v_fma_f64 v[78:79], v[56:57], s[0:1], -v[70:71]
	v_add_f64 v[156:157], v[146:147], v[202:203]
	v_add_f64 v[202:203], v[78:79], v[90:91]
	v_mul_f64 v[78:79], v[60:61], s[40:41]
	v_fmac_f64_e32 v[70:71], s[0:1], v[56:57]
	v_fma_f64 v[80:81], s[0:1], v[58:59], v[78:79]
	v_add_f64 v[206:207], v[70:71], v[88:89]
	v_fma_f64 v[70:71], v[58:59], s[0:1], -v[78:79]
	v_mul_f64 v[78:79], v[62:63], s[30:31]
	v_add_f64 v[204:205], v[80:81], v[136:137]
	v_add_f64 v[208:209], v[70:71], v[92:93]
	v_fma_f64 v[70:71], v[56:57], s[22:23], -v[78:79]
	v_mul_f64 v[80:81], v[60:61], s[30:31]
	v_add_f64 v[146:147], v[70:71], v[138:139]
	v_fma_f64 v[70:71], s[22:23], v[58:59], v[80:81]
	v_fmac_f64_e32 v[78:79], s[22:23], v[56:57]
	v_add_f64 v[70:71], v[70:71], v[142:143]
	v_add_f64 v[142:143], v[78:79], v[94:95]
	v_fma_f64 v[78:79], v[58:59], s[22:23], -v[80:81]
	v_mul_f64 v[80:81], v[62:63], s[34:35]
	v_add_f64 v[138:139], v[76:77], -v[74:75]
	v_add_f64 v[140:141], v[78:79], v[140:141]
	v_fma_f64 v[78:79], v[56:57], s[28:29], -v[80:81]
	v_fmac_f64_e32 v[80:81], s[28:29], v[56:57]
	v_add_f64 v[94:95], v[76:77], v[74:75]
	v_add_f64 v[92:93], v[72:73], v[68:69]
	v_mul_f64 v[74:75], v[138:139], s[26:27]
	v_add_f64 v[80:81], v[80:81], v[144:145]
	v_mul_f64 v[62:63], v[62:63], s[36:37]
	v_add_f64 v[144:145], v[72:73], -v[68:69]
	v_fma_f64 v[76:77], s[24:25], v[92:93], v[74:75]
	v_fma_f64 v[74:75], v[92:93], s[24:25], -v[74:75]
	v_add_f64 v[66:67], v[66:67], v[84:85]
	v_mul_f64 v[82:83], v[60:61], s[34:35]
	v_fma_f64 v[84:85], v[56:57], s[20:21], -v[62:63]
	v_mul_f64 v[60:61], v[60:61], s[36:37]
	v_fmac_f64_e32 v[62:63], s[20:21], v[56:57]
	v_add_f64 v[74:75], v[74:75], v[140:141]
	v_mul_f64 v[140:141], v[144:145], s[36:37]
	v_add_f64 v[136:137], v[78:79], v[148:149]
	v_add_f64 v[88:89], v[62:63], v[16:17]
	v_fma_f64 v[16:17], v[58:59], s[20:21], -v[60:61]
	v_mul_f64 v[72:73], v[144:145], s[26:27]
	v_add_f64 v[70:71], v[76:77], v[70:71]
	v_fma_f64 v[76:77], v[94:95], s[20:21], -v[140:141]
	v_fma_f64 v[78:79], s[28:29], v[58:59], v[82:83]
	v_fma_f64 v[82:83], v[58:59], s[28:29], -v[82:83]
	v_add_f64 v[90:91], v[16:17], v[18:19]
	v_mul_f64 v[16:17], v[144:145], s[34:35]
	v_fma_f64 v[68:69], v[94:95], s[24:25], -v[72:73]
	v_fmac_f64_e32 v[72:73], s[24:25], v[94:95]
	v_add_f64 v[76:77], v[76:77], v[136:137]
	v_mul_f64 v[136:137], v[138:139], s[36:37]
	v_add_f64 v[82:83], v[82:83], v[152:153]
	v_fma_f64 v[86:87], s[20:21], v[58:59], v[60:61]
	v_fma_f64 v[18:19], v[94:95], s[28:29], -v[16:17]
	v_mul_f64 v[60:61], v[144:145], s[38:39]
	v_add_f64 v[72:73], v[72:73], v[142:143]
	v_fma_f64 v[142:143], s[20:21], v[92:93], v[136:137]
	v_fma_f64 v[136:137], v[92:93], s[20:21], -v[136:137]
	v_add_f64 v[56:57], v[18:19], v[158:159]
	v_mul_f64 v[18:19], v[138:139], s[34:35]
	v_fmac_f64_e32 v[16:17], s[28:29], v[94:95]
	v_fma_f64 v[62:63], v[94:95], s[22:23], -v[60:61]
	v_fmac_f64_e32 v[140:141], s[20:21], v[94:95]
	v_add_f64 v[82:83], v[136:137], v[82:83]
	v_mul_f64 v[136:137], v[144:145], s[18:19]
	v_add_f64 v[84:85], v[84:85], v[154:155]
	v_fma_f64 v[58:59], s[28:29], v[92:93], v[18:19]
	v_add_f64 v[16:17], v[16:17], v[64:65]
	v_fma_f64 v[18:19], v[92:93], s[28:29], -v[18:19]
	v_add_f64 v[64:65], v[62:63], v[202:203]
	v_mul_f64 v[62:63], v[138:139], s[38:39]
	v_add_f64 v[80:81], v[140:141], v[80:81]
	v_fma_f64 v[140:141], v[94:95], s[0:1], -v[136:137]
	v_mul_f64 v[138:139], v[138:139], s[18:19]
	v_add_f64 v[18:19], v[18:19], v[66:67]
	v_fma_f64 v[66:67], s[22:23], v[92:93], v[62:63]
	v_fmac_f64_e32 v[60:61], s[22:23], v[94:95]
	v_fma_f64 v[62:63], v[92:93], s[22:23], -v[62:63]
	v_add_f64 v[84:85], v[140:141], v[84:85]
	v_fma_f64 v[140:141], s[0:1], v[92:93], v[138:139]
	v_fmac_f64_e32 v[136:137], s[0:1], v[94:95]
	v_fma_f64 v[92:93], v[92:93], s[0:1], -v[138:139]
	v_add_f64 v[94:95], v[2:3], v[128:129]
	v_add_f64 v[90:91], v[92:93], v[90:91]
	;; [unrolled: 1-line block ×19, first 2 shown]
	v_add_f64 v[128:129], v[128:129], -v[132:133]
	v_add_f64 v[86:87], v[86:87], v[156:157]
	v_add_f64 v[58:59], v[58:59], v[200:201]
	;; [unrolled: 1-line block ×6, first 2 shown]
	v_add_f64 v[130:131], v[130:131], -v[134:135]
	v_mul_f64 v[132:133], v[128:129], s[30:31]
	v_mul_f64 v[144:145], v[128:129], s[42:43]
	;; [unrolled: 1-line block ×5, first 2 shown]
	v_add_f64 v[78:79], v[78:79], v[150:151]
	v_add_f64 v[66:67], v[66:67], v[204:205]
	;; [unrolled: 1-line block ×6, first 2 shown]
	v_fma_f64 v[134:135], v[136:137], s[22:23], -v[132:133]
	v_mul_f64 v[140:141], v[130:131], s[30:31]
	v_fmac_f64_e32 v[132:133], s[22:23], v[136:137]
	v_fma_f64 v[146:147], v[136:137], s[20:21], -v[144:145]
	v_mul_f64 v[148:149], v[130:131], s[42:43]
	v_fmac_f64_e32 v[144:145], s[20:21], v[136:137]
	;; [unrolled: 3-line block ×5, first 2 shown]
	v_add_f64 v[60:61], v[60:61], v[206:207]
	v_add_f64 v[78:79], v[142:143], v[78:79]
	;; [unrolled: 1-line block ×3, first 2 shown]
	v_fma_f64 v[142:143], s[22:23], v[138:139], v[140:141]
	v_add_f64 v[132:133], v[0:1], v[132:133]
	v_fma_f64 v[140:141], v[138:139], s[22:23], -v[140:141]
	v_add_f64 v[146:147], v[0:1], v[146:147]
	v_fma_f64 v[150:151], s[20:21], v[138:139], v[148:149]
	v_add_f64 v[144:145], v[0:1], v[144:145]
	v_fma_f64 v[148:149], v[138:139], s[20:21], -v[148:149]
	v_add_f64 v[154:155], v[0:1], v[154:155]
	;; [unrolled: 4-line block ×5, first 2 shown]
	v_add_f64 v[120:121], v[120:121], -v[124:125]
	v_add_f64 v[142:143], v[2:3], v[142:143]
	v_add_f64 v[140:141], v[2:3], v[140:141]
	;; [unrolled: 1-line block ×11, first 2 shown]
	v_mul_f64 v[124:125], v[120:121], s[42:43]
	v_add_f64 v[122:123], v[122:123], -v[126:127]
	v_fma_f64 v[126:127], v[128:129], s[20:21], -v[124:125]
	v_add_f64 v[126:127], v[126:127], v[134:135]
	v_mul_f64 v[134:135], v[122:123], s[42:43]
	v_fmac_f64_e32 v[124:125], s[20:21], v[128:129]
	v_fma_f64 v[136:137], s[20:21], v[130:131], v[134:135]
	v_add_f64 v[124:125], v[124:125], v[132:133]
	v_fma_f64 v[132:133], v[130:131], s[20:21], -v[134:135]
	v_mul_f64 v[134:135], v[120:121], s[26:27]
	v_fma_f64 v[138:139], v[128:129], s[24:25], -v[134:135]
	v_fmac_f64_e32 v[134:135], s[24:25], v[128:129]
	v_add_f64 v[132:133], v[132:133], v[140:141]
	v_mul_f64 v[140:141], v[122:123], s[26:27]
	v_add_f64 v[134:135], v[134:135], v[144:145]
	v_mul_f64 v[144:145], v[120:121], s[44:45]
	v_add_f64 v[136:137], v[136:137], v[142:143]
	v_add_f64 v[138:139], v[138:139], v[146:147]
	v_fma_f64 v[142:143], s[24:25], v[130:131], v[140:141]
	v_fma_f64 v[140:141], v[130:131], s[24:25], -v[140:141]
	v_fma_f64 v[146:147], v[128:129], s[28:29], -v[144:145]
	v_fmac_f64_e32 v[144:145], s[28:29], v[128:129]
	v_add_f64 v[140:141], v[140:141], v[148:149]
	v_mul_f64 v[148:149], v[122:123], s[44:45]
	v_add_f64 v[144:145], v[144:145], v[152:153]
	v_mul_f64 v[152:153], v[120:121], s[40:41]
	v_add_f64 v[142:143], v[142:143], v[150:151]
	v_add_f64 v[146:147], v[146:147], v[154:155]
	v_fma_f64 v[150:151], s[28:29], v[130:131], v[148:149]
	v_fma_f64 v[148:149], v[130:131], s[28:29], -v[148:149]
	v_fma_f64 v[154:155], v[128:129], s[0:1], -v[152:153]
	v_fmac_f64_e32 v[152:153], s[0:1], v[128:129]
	v_mul_f64 v[120:121], v[120:121], s[38:39]
	v_add_f64 v[148:149], v[148:149], v[156:157]
	v_mul_f64 v[156:157], v[122:123], s[40:41]
	v_add_f64 v[152:153], v[152:153], v[200:201]
	v_fma_f64 v[200:201], v[128:129], s[22:23], -v[120:121]
	v_mul_f64 v[122:123], v[122:123], s[38:39]
	v_fmac_f64_e32 v[120:121], s[22:23], v[128:129]
	v_add_f64 v[154:155], v[154:155], v[202:203]
	v_fma_f64 v[202:203], s[22:23], v[130:131], v[122:123]
	v_add_f64 v[0:1], v[120:121], v[0:1]
	v_fma_f64 v[120:121], v[130:131], s[22:23], -v[122:123]
	v_add_f64 v[122:123], v[112:113], v[116:117]
	v_add_f64 v[112:113], v[112:113], -v[116:117]
	v_add_f64 v[2:3], v[120:121], v[2:3]
	v_add_f64 v[120:121], v[114:115], v[118:119]
	v_mul_f64 v[116:117], v[112:113], s[18:19]
	v_add_f64 v[114:115], v[114:115], -v[118:119]
	v_fma_f64 v[118:119], v[120:121], s[0:1], -v[116:117]
	v_add_f64 v[118:119], v[118:119], v[126:127]
	v_mul_f64 v[126:127], v[114:115], s[18:19]
	v_fmac_f64_e32 v[116:117], s[0:1], v[120:121]
	v_add_f64 v[116:117], v[116:117], v[124:125]
	v_fma_f64 v[124:125], v[122:123], s[0:1], -v[126:127]
	v_fma_f64 v[128:129], s[0:1], v[122:123], v[126:127]
	v_add_f64 v[124:125], v[124:125], v[132:133]
	v_mul_f64 v[132:133], v[114:115], s[44:45]
	v_add_f64 v[128:129], v[128:129], v[136:137]
	v_mul_f64 v[126:127], v[112:113], s[44:45]
	v_fma_f64 v[136:137], s[28:29], v[122:123], v[132:133]
	v_fma_f64 v[132:133], v[122:123], s[28:29], -v[132:133]
	v_add_f64 v[150:151], v[150:151], v[158:159]
	v_fma_f64 v[158:159], s[0:1], v[130:131], v[156:157]
	v_fma_f64 v[156:157], v[130:131], s[0:1], -v[156:157]
	v_fma_f64 v[130:131], v[120:121], s[28:29], -v[126:127]
	v_fmac_f64_e32 v[126:127], s[28:29], v[120:121]
	v_add_f64 v[132:133], v[132:133], v[140:141]
	v_mul_f64 v[140:141], v[114:115], s[36:37]
	v_add_f64 v[136:137], v[136:137], v[142:143]
	v_add_f64 v[126:127], v[126:127], v[134:135]
	v_mul_f64 v[134:135], v[112:113], s[36:37]
	v_fma_f64 v[142:143], s[20:21], v[122:123], v[140:141]
	v_fma_f64 v[140:141], v[122:123], s[20:21], -v[140:141]
	v_add_f64 v[130:131], v[130:131], v[138:139]
	v_fma_f64 v[138:139], v[120:121], s[20:21], -v[134:135]
	v_fmac_f64_e32 v[134:135], s[20:21], v[120:121]
	v_add_f64 v[140:141], v[140:141], v[148:149]
	v_mul_f64 v[148:149], v[114:115], s[30:31]
	v_add_f64 v[156:157], v[156:157], v[204:205]
	v_add_f64 v[142:143], v[142:143], v[150:151]
	;; [unrolled: 1-line block ×3, first 2 shown]
	v_mul_f64 v[144:145], v[112:113], s[30:31]
	v_fma_f64 v[150:151], s[22:23], v[122:123], v[148:149]
	v_fma_f64 v[148:149], v[122:123], s[22:23], -v[148:149]
	v_add_f64 v[138:139], v[138:139], v[146:147]
	v_fma_f64 v[146:147], v[120:121], s[22:23], -v[144:145]
	v_fmac_f64_e32 v[144:145], s[22:23], v[120:121]
	v_add_f64 v[148:149], v[148:149], v[156:157]
	v_mul_f64 v[112:113], v[112:113], s[26:27]
	v_add_f64 v[156:157], v[104:105], v[108:109]
	v_add_f64 v[104:105], v[104:105], -v[108:109]
	v_add_f64 v[144:145], v[144:145], v[152:153]
	v_fma_f64 v[152:153], v[120:121], s[24:25], -v[112:113]
	v_fmac_f64_e32 v[112:113], s[24:25], v[120:121]
	v_add_f64 v[120:121], v[106:107], v[110:111]
	v_mul_f64 v[108:109], v[104:105], s[26:27]
	v_add_f64 v[158:159], v[158:159], v[206:207]
	v_mul_f64 v[114:115], v[114:115], s[26:27]
	v_add_f64 v[106:107], v[106:107], -v[110:111]
	v_fma_f64 v[110:111], v[120:121], s[24:25], -v[108:109]
	v_add_f64 v[202:203], v[202:203], v[210:211]
	v_add_f64 v[146:147], v[146:147], v[154:155]
	;; [unrolled: 1-line block ×3, first 2 shown]
	v_fma_f64 v[154:155], s[24:25], v[122:123], v[114:115]
	v_add_f64 v[158:159], v[110:111], v[118:119]
	v_mul_f64 v[110:111], v[106:107], s[26:27]
	v_fmac_f64_e32 v[108:109], s[24:25], v[120:121]
	v_add_f64 v[154:155], v[154:155], v[202:203]
	v_add_f64 v[202:203], v[108:109], v[116:117]
	v_fma_f64 v[108:109], v[156:157], s[24:25], -v[110:111]
	v_add_f64 v[0:1], v[112:113], v[0:1]
	v_fma_f64 v[112:113], v[122:123], s[24:25], -v[114:115]
	v_add_f64 v[204:205], v[108:109], v[124:125]
	v_mul_f64 v[108:109], v[104:105], s[40:41]
	v_add_f64 v[2:3], v[112:113], v[2:3]
	v_fma_f64 v[112:113], s[24:25], v[156:157], v[110:111]
	v_fma_f64 v[110:111], v[120:121], s[0:1], -v[108:109]
	v_add_f64 v[200:201], v[200:201], v[208:209]
	v_add_f64 v[206:207], v[110:111], v[130:131]
	v_mul_f64 v[110:111], v[106:107], s[40:41]
	v_add_f64 v[152:153], v[152:153], v[200:201]
	v_add_f64 v[200:201], v[112:113], v[128:129]
	v_fma_f64 v[112:113], s[0:1], v[156:157], v[110:111]
	v_fmac_f64_e32 v[108:109], s[0:1], v[120:121]
	v_add_f64 v[208:209], v[112:113], v[136:137]
	v_add_f64 v[210:211], v[108:109], v[126:127]
	v_fma_f64 v[108:109], v[156:157], s[0:1], -v[110:111]
	v_mul_f64 v[112:113], v[104:105], s[30:31]
	v_add_f64 v[6:7], v[6:7], v[212:213]
	v_add_f64 v[212:213], v[108:109], v[132:133]
	v_fma_f64 v[108:109], v[120:121], s[22:23], -v[112:113]
	v_mul_f64 v[114:115], v[106:107], s[30:31]
	v_add_f64 v[108:109], v[108:109], v[138:139]
	v_fma_f64 v[110:111], s[22:23], v[156:157], v[114:115]
	v_fmac_f64_e32 v[112:113], s[22:23], v[120:121]
	v_fma_f64 v[114:115], v[156:157], s[22:23], -v[114:115]
	v_add_f64 v[138:139], v[96:97], -v[100:101]
	v_add_f64 v[112:113], v[112:113], v[134:135]
	v_add_f64 v[114:115], v[114:115], v[140:141]
	;; [unrolled: 1-line block ×3, first 2 shown]
	v_mul_f64 v[140:141], v[138:139], s[26:27]
	v_add_f64 v[110:111], v[110:111], v[142:143]
	v_mul_f64 v[122:123], v[104:105], s[34:35]
	v_add_f64 v[136:137], v[98:99], -v[102:103]
	v_fma_f64 v[142:143], v[134:135], s[24:25], -v[140:141]
	v_fma_f64 v[116:117], v[120:121], s[28:29], -v[122:123]
	v_mul_f64 v[124:125], v[106:107], s[34:35]
	v_fmac_f64_e32 v[122:123], s[28:29], v[120:121]
	v_add_f64 v[132:133], v[96:97], v[100:101]
	v_add_f64 v[108:109], v[142:143], v[108:109]
	v_mul_f64 v[142:143], v[136:137], s[26:27]
	v_fmac_f64_e32 v[140:141], s[24:25], v[134:135]
	v_add_f64 v[130:131], v[122:123], v[144:145]
	v_fma_f64 v[122:123], v[156:157], s[28:29], -v[124:125]
	v_mul_f64 v[104:105], v[104:105], s[36:37]
	v_add_f64 v[112:113], v[140:141], v[112:113]
	v_fma_f64 v[140:141], v[132:133], s[24:25], -v[142:143]
	v_add_f64 v[128:129], v[122:123], v[148:149]
	v_fma_f64 v[122:123], v[120:121], s[20:21], -v[104:105]
	v_mul_f64 v[106:107], v[106:107], s[36:37]
	v_add_f64 v[114:115], v[140:141], v[114:115]
	v_mul_f64 v[140:141], v[138:139], s[36:37]
	v_add_f64 v[116:117], v[116:117], v[146:147]
	v_add_f64 v[126:127], v[122:123], v[152:153]
	v_fma_f64 v[122:123], s[20:21], v[156:157], v[106:107]
	v_fmac_f64_e32 v[104:105], s[20:21], v[120:121]
	v_fma_f64 v[144:145], s[24:25], v[132:133], v[142:143]
	v_fma_f64 v[142:143], v[134:135], s[20:21], -v[140:141]
	v_fma_f64 v[118:119], s[28:29], v[156:157], v[124:125]
	v_add_f64 v[124:125], v[122:123], v[154:155]
	v_add_f64 v[122:123], v[104:105], v[0:1]
	v_fma_f64 v[0:1], v[156:157], s[20:21], -v[106:107]
	v_add_f64 v[116:117], v[142:143], v[116:117]
	v_mul_f64 v[142:143], v[136:137], s[36:37]
	v_fmac_f64_e32 v[140:141], s[20:21], v[134:135]
	v_add_f64 v[120:121], v[0:1], v[2:3]
	v_mul_f64 v[0:1], v[138:139], s[34:35]
	v_mul_f64 v[100:101], v[138:139], s[38:39]
	v_add_f64 v[140:141], v[140:141], v[130:131]
	v_fma_f64 v[130:131], v[132:133], s[20:21], -v[142:143]
	v_fma_f64 v[2:3], v[134:135], s[28:29], -v[0:1]
	;; [unrolled: 1-line block ×3, first 2 shown]
	v_add_f64 v[110:111], v[144:145], v[110:111]
	v_fma_f64 v[144:145], s[20:21], v[132:133], v[142:143]
	v_add_f64 v[142:143], v[130:131], v[128:129]
	v_mul_f64 v[130:131], v[138:139], s[18:19]
	v_add_f64 v[96:97], v[2:3], v[158:159]
	v_mul_f64 v[2:3], v[136:137], s[34:35]
	;; [unrolled: 2-line block ×3, first 2 shown]
	v_fma_f64 v[128:129], v[134:135], s[0:1], -v[130:131]
	v_mul_f64 v[136:137], v[136:137], s[18:19]
	v_add_f64 v[4:5], v[4:5], v[214:215]
	v_add_f64 v[126:127], v[128:129], v[126:127]
	v_fma_f64 v[128:129], s[0:1], v[132:133], v[136:137]
	v_add_f64 v[118:119], v[118:119], v[150:151]
	v_fma_f64 v[98:99], s[28:29], v[132:133], v[2:3]
	v_fma_f64 v[106:107], s[22:23], v[132:133], v[102:103]
	v_fmac_f64_e32 v[100:101], s[22:23], v[134:135]
	v_fma_f64 v[102:103], v[132:133], s[22:23], -v[102:103]
	v_add_f64 v[128:129], v[128:129], v[124:125]
	v_fmac_f64_e32 v[130:131], s[0:1], v[134:135]
	v_fma_f64 v[124:125], v[132:133], s[0:1], -v[136:137]
	ds_write_b128 v248, v[4:7]
	ds_write_b128 v248, v[12:15] offset:816
	ds_write_b128 v248, v[24:27] offset:1632
	;; [unrolled: 1-line block ×21, first 2 shown]
	v_lshlrev_b32_e32 v4, 4, v225
	v_add_f64 v[98:99], v[98:99], v[200:201]
	v_add_f64 v[106:107], v[106:107], v[208:209]
	;; [unrolled: 1-line block ×7, first 2 shown]
	ds_write_b128 v4, v[92:95] offset:17952
	ds_write_b128 v4, v[96:99] offset:18768
	;; [unrolled: 1-line block ×10, first 2 shown]
	v_lshlrev_b32_e32 v112, 5, v160
	v_add_co_u32_e64 v114, s[0:1], s4, v112
	v_mov_b32_e32 v128, s5
	v_addc_co_u32_e64 v115, s[0:1], 0, v128, s[0:1]
	s_movk_i32 s18, 0x2200
	v_add_co_u32_e64 v112, s[0:1], s18, v114
	v_addc_co_u32_e64 v113, s[0:1], 0, v115, s[0:1]
	s_movk_i32 s5, 0x2000
	v_fmac_f64_e32 v[0:1], s[28:29], v[134:135]
	v_fma_f64 v[2:3], v[132:133], s[28:29], -v[2:3]
	v_add_co_u32_e64 v114, s[0:1], s5, v114
	v_add_f64 v[0:1], v[0:1], v[202:203]
	v_add_f64 v[2:3], v[2:3], v[204:205]
	v_addc_co_u32_e64 v115, s[0:1], 0, v115, s[0:1]
	v_accvgpr_write_b32 a187, v4
	ds_write_b128 v4, v[0:3] offset:26112
	s_waitcnt lgkmcnt(0)
	; wave barrier
	s_waitcnt lgkmcnt(0)
	ds_read_b128 v[152:155], v248
	ds_read_b128 v[108:111], v248 offset:8976
	ds_read_b128 v[104:107], v248 offset:17952
	;; [unrolled: 1-line block ×32, first 2 shown]
	global_load_dwordx4 v[118:121], v[114:115], off offset:512
	s_nop 0
	global_load_dwordx4 v[114:117], v[112:113], off offset:16
	s_waitcnt vmcnt(1) lgkmcnt(14)
	v_mul_f64 v[112:113], v[110:111], v[120:121]
	v_fma_f64 v[112:113], v[108:109], v[118:119], -v[112:113]
	v_mul_f64 v[108:109], v[108:109], v[120:121]
	v_fmac_f64_e32 v[108:109], v[110:111], v[118:119]
	s_waitcnt vmcnt(0)
	v_mul_f64 v[110:111], v[106:107], v[116:117]
	v_fma_f64 v[110:111], v[104:105], v[114:115], -v[110:111]
	v_mul_f64 v[104:105], v[104:105], v[116:117]
	v_accvgpr_write_b32 a231, v117
	v_fmac_f64_e32 v[104:105], v[106:107], v[114:115]
	v_lshlrev_b32_e32 v106, 5, v254
	v_accvgpr_write_b32 a230, v116
	v_accvgpr_write_b32 a229, v115
	v_accvgpr_write_b32 a228, v114
	v_add_co_u32_e64 v114, s[0:1], s4, v106
	v_addc_co_u32_e64 v115, s[0:1], 0, v128, s[0:1]
	v_add_co_u32_e64 v106, s[0:1], s18, v114
	v_addc_co_u32_e64 v107, s[0:1], 0, v115, s[0:1]
	v_add_co_u32_e64 v114, s[0:1], s5, v114
	v_accvgpr_write_b32 a235, v121
	v_addc_co_u32_e64 v115, s[0:1], 0, v115, s[0:1]
	v_accvgpr_write_b32 a234, v120
	v_accvgpr_write_b32 a233, v119
	v_accvgpr_write_b32 a232, v118
	global_load_dwordx4 v[118:121], v[114:115], off offset:512
	s_nop 0
	global_load_dwordx4 v[114:117], v[106:107], off offset:16
	s_waitcnt vmcnt(1)
	v_mul_f64 v[106:107], v[6:7], v[120:121]
	v_fma_f64 v[106:107], v[4:5], v[118:119], -v[106:107]
	v_mul_f64 v[4:5], v[4:5], v[120:121]
	v_fmac_f64_e32 v[4:5], v[6:7], v[118:119]
	s_waitcnt vmcnt(0)
	v_mul_f64 v[6:7], v[2:3], v[116:117]
	v_fma_f64 v[6:7], v[0:1], v[114:115], -v[6:7]
	v_mul_f64 v[0:1], v[0:1], v[116:117]
	v_accvgpr_write_b32 a239, v117
	v_fmac_f64_e32 v[0:1], v[2:3], v[114:115]
	v_lshlrev_b32_e32 v2, 5, v224
	v_accvgpr_write_b32 a238, v116
	v_accvgpr_write_b32 a237, v115
	v_accvgpr_write_b32 a236, v114
	v_add_co_u32_e64 v114, s[0:1], s4, v2
	v_addc_co_u32_e64 v115, s[0:1], 0, v128, s[0:1]
	v_add_co_u32_e64 v2, s[0:1], s18, v114
	v_addc_co_u32_e64 v3, s[0:1], 0, v115, s[0:1]
	v_add_co_u32_e64 v114, s[0:1], s5, v114
	v_accvgpr_write_b32 a243, v121
	v_addc_co_u32_e64 v115, s[0:1], 0, v115, s[0:1]
	v_accvgpr_write_b32 a242, v120
	v_accvgpr_write_b32 a241, v119
	v_accvgpr_write_b32 a240, v118
	global_load_dwordx4 v[114:117], v[114:115], off offset:512
	s_nop 0
	global_load_dwordx4 v[118:121], v[2:3], off offset:16
	s_waitcnt vmcnt(1)
	;; [unrolled: 28-line block ×5, first 2 shown]
	v_mul_f64 v[26:27], v[38:39], v[120:121]
	v_fma_f64 v[26:27], v[36:37], v[118:119], -v[26:27]
	v_mul_f64 v[36:37], v[36:37], v[120:121]
	v_fmac_f64_e32 v[36:37], v[38:39], v[118:119]
	s_waitcnt vmcnt(0)
	v_mul_f64 v[38:39], v[34:35], v[116:117]
	v_fma_f64 v[38:39], v[32:33], v[114:115], -v[38:39]
	v_mul_f64 v[32:33], v[32:33], v[116:117]
	v_accvgpr_write_b32 a30, v114
	v_fmac_f64_e32 v[32:33], v[34:35], v[114:115]
	v_lshlrev_b32_e32 v34, 5, v220
	v_accvgpr_write_b32 a31, v115
	v_accvgpr_write_b32 a32, v116
	;; [unrolled: 1-line block ×3, first 2 shown]
	v_add_co_u32_e64 v114, s[0:1], s4, v34
	v_addc_co_u32_e64 v115, s[0:1], 0, v128, s[0:1]
	v_add_co_u32_e64 v34, s[0:1], s18, v114
	v_addc_co_u32_e64 v35, s[0:1], 0, v115, s[0:1]
	v_add_co_u32_e64 v114, s[0:1], s5, v114
	v_accvgpr_write_b32 a58, v118
	v_addc_co_u32_e64 v115, s[0:1], 0, v115, s[0:1]
	v_accvgpr_write_b32 a59, v119
	v_accvgpr_write_b32 a60, v120
	;; [unrolled: 1-line block ×3, first 2 shown]
	global_load_dwordx4 v[116:119], v[114:115], off offset:512
	global_load_dwordx4 v[120:123], v[34:35], off offset:16
	s_waitcnt vmcnt(1) lgkmcnt(13)
	v_mul_f64 v[34:35], v[46:47], v[118:119]
	v_fma_f64 v[34:35], v[44:45], v[116:117], -v[34:35]
	v_mul_f64 v[114:115], v[44:45], v[118:119]
	v_accvgpr_write_b32 a54, v116
	s_waitcnt vmcnt(0) lgkmcnt(12)
	v_mul_f64 v[44:45], v[42:43], v[122:123]
	v_accvgpr_write_b32 a55, v117
	v_accvgpr_write_b32 a56, v118
	;; [unrolled: 1-line block ×3, first 2 shown]
	v_fmac_f64_e32 v[114:115], v[46:47], v[116:117]
	v_fma_f64 v[116:117], v[40:41], v[120:121], -v[44:45]
	v_mul_f64 v[118:119], v[40:41], v[122:123]
	v_lshlrev_b32_e32 v40, 5, v219
	v_fmac_f64_e32 v[118:119], v[42:43], v[120:121]
	v_add_co_u32_e64 v42, s[0:1], s4, v40
	v_addc_co_u32_e64 v43, s[0:1], 0, v128, s[0:1]
	v_add_co_u32_e64 v40, s[0:1], s18, v42
	v_addc_co_u32_e64 v41, s[0:1], 0, v43, s[0:1]
	;; [unrolled: 2-line block ×3, first 2 shown]
	global_load_dwordx4 v[124:127], v[42:43], off offset:512
	s_nop 0
	global_load_dwordx4 v[42:45], v[40:41], off offset:16
	v_accvgpr_write_b32 a22, v120
	v_accvgpr_write_b32 a23, v121
	v_accvgpr_write_b32 a24, v122
	v_accvgpr_write_b32 a25, v123
	s_waitcnt vmcnt(1) lgkmcnt(10)
	v_mul_f64 v[40:41], v[54:55], v[126:127]
	v_fma_f64 v[120:121], v[52:53], v[124:125], -v[40:41]
	v_mul_f64 v[122:123], v[52:53], v[126:127]
	v_accvgpr_write_b32 a34, v124
	s_waitcnt vmcnt(0) lgkmcnt(9)
	v_mul_f64 v[40:41], v[50:51], v[44:45]
	v_accvgpr_write_b32 a35, v125
	v_accvgpr_write_b32 a36, v126
	;; [unrolled: 1-line block ×3, first 2 shown]
	v_fmac_f64_e32 v[122:123], v[54:55], v[124:125]
	v_fma_f64 v[124:125], v[48:49], v[42:43], -v[40:41]
	v_mul_f64 v[126:127], v[48:49], v[44:45]
	v_accvgpr_write_b32 a18, v42
	v_lshlrev_b32_e32 v40, 5, v218
	v_accvgpr_write_b32 a19, v43
	v_accvgpr_write_b32 a20, v44
	;; [unrolled: 1-line block ×3, first 2 shown]
	v_fmac_f64_e32 v[126:127], v[50:51], v[42:43]
	v_add_co_u32_e64 v42, s[0:1], s4, v40
	v_addc_co_u32_e64 v43, s[0:1], 0, v128, s[0:1]
	v_add_co_u32_e64 v40, s[0:1], s18, v42
	v_addc_co_u32_e64 v41, s[0:1], 0, v43, s[0:1]
	;; [unrolled: 2-line block ×3, first 2 shown]
	global_load_dwordx4 v[48:51], v[42:43], off offset:512
	global_load_dwordx4 v[44:47], v[40:41], off offset:16
	s_waitcnt vmcnt(1) lgkmcnt(7)
	v_mul_f64 v[40:41], v[62:63], v[50:51]
	v_fma_f64 v[40:41], v[60:61], v[48:49], -v[40:41]
	v_mul_f64 v[42:43], v[60:61], v[50:51]
	s_waitcnt vmcnt(0) lgkmcnt(6)
	v_mul_f64 v[60:61], v[58:59], v[46:47]
	v_mul_f64 v[132:133], v[56:57], v[46:47]
	v_accvgpr_write_b32 a53, v47
	v_fma_f64 v[130:131], v[56:57], v[44:45], -v[60:61]
	v_accvgpr_write_b32 a52, v46
	v_accvgpr_write_b32 a51, v45
	;; [unrolled: 1-line block ×3, first 2 shown]
	v_fmac_f64_e32 v[132:133], v[58:59], v[44:45]
	v_lshlrev_b32_e32 v44, 5, v243
	v_add_co_u32_e64 v44, s[0:1], s4, v44
	v_addc_co_u32_e64 v45, s[0:1], 0, v128, s[0:1]
	v_add_co_u32_e64 v56, s[0:1], s18, v44
	v_addc_co_u32_e64 v57, s[0:1], 0, v45, s[0:1]
	v_add_co_u32_e64 v58, s[0:1], s5, v44
	v_accvgpr_write_b32 a14, v48
	v_addc_co_u32_e64 v59, s[0:1], 0, v45, s[0:1]
	v_accvgpr_write_b32 a15, v49
	v_accvgpr_write_b32 a16, v50
	;; [unrolled: 1-line block ×3, first 2 shown]
	v_fmac_f64_e32 v[42:43], v[62:63], v[48:49]
	global_load_dwordx4 v[48:51], v[58:59], off offset:512
	global_load_dwordx4 v[44:47], v[56:57], off offset:16
	s_waitcnt vmcnt(1) lgkmcnt(4)
	v_mul_f64 v[134:135], v[70:71], v[50:51]
	v_fma_f64 v[134:135], v[68:69], v[48:49], -v[134:135]
	v_mul_f64 v[244:245], v[68:69], v[50:51]
	s_waitcnt vmcnt(0) lgkmcnt(3)
	v_mul_f64 v[68:69], v[66:67], v[46:47]
	v_mul_f64 v[250:251], v[64:65], v[46:47]
	v_accvgpr_write_b32 a10, v44
	v_fma_f64 v[246:247], v[64:65], v[44:45], -v[68:69]
	v_accvgpr_write_b32 a11, v45
	v_accvgpr_write_b32 a12, v46
	;; [unrolled: 1-line block ×3, first 2 shown]
	v_fmac_f64_e32 v[250:251], v[66:67], v[44:45]
	v_lshlrev_b32_e32 v44, 5, v217
	v_add_co_u32_e64 v44, s[0:1], s4, v44
	v_addc_co_u32_e64 v45, s[0:1], 0, v128, s[0:1]
	v_add_co_u32_e64 v64, s[0:1], s18, v44
	v_addc_co_u32_e64 v65, s[0:1], 0, v45, s[0:1]
	v_add_co_u32_e64 v66, s[0:1], s5, v44
	v_accvgpr_write_b32 a26, v48
	v_addc_co_u32_e64 v67, s[0:1], 0, v45, s[0:1]
	v_accvgpr_write_b32 a27, v49
	v_accvgpr_write_b32 a28, v50
	;; [unrolled: 1-line block ×3, first 2 shown]
	v_fmac_f64_e32 v[244:245], v[70:71], v[48:49]
	global_load_dwordx4 v[44:47], v[66:67], off offset:512
	global_load_dwordx4 v[48:51], v[64:65], off offset:16
	s_waitcnt vmcnt(1) lgkmcnt(1)
	v_mul_f64 v[128:129], v[102:103], v[46:47]
	v_fma_f64 v[252:253], v[100:101], v[44:45], -v[128:129]
	v_mul_f64 v[254:255], v[100:101], v[46:47]
	v_accvgpr_write_b32 a65, v47
	s_waitcnt vmcnt(0) lgkmcnt(0)
	v_mul_f64 v[100:101], v[98:99], v[50:51]
	v_accvgpr_write_b32 a64, v46
	v_accvgpr_write_b32 a63, v45
	;; [unrolled: 1-line block ×3, first 2 shown]
	v_fmac_f64_e32 v[254:255], v[102:103], v[44:45]
	v_fma_f64 v[44:45], v[96:97], v[48:49], -v[100:101]
	v_mul_f64 v[46:47], v[96:97], v[50:51]
	v_add_f64 v[96:97], v[152:153], v[112:113]
	v_add_f64 v[240:241], v[96:97], v[110:111]
	v_add_f64 v[96:97], v[112:113], v[110:111]
	v_fmac_f64_e32 v[152:153], -0.5, v[96:97]
	v_add_f64 v[96:97], v[108:109], -v[104:105]
	v_fma_f64 v[232:233], s[12:13], v[96:97], v[152:153]
	v_fmac_f64_e32 v[152:153], s[16:17], v[96:97]
	v_add_f64 v[96:97], v[154:155], v[108:109]
	v_add_f64 v[242:243], v[96:97], v[104:105]
	v_add_f64 v[96:97], v[108:109], v[104:105]
	v_fmac_f64_e32 v[154:155], -0.5, v[96:97]
	v_add_f64 v[96:97], v[112:113], -v[110:111]
	v_fma_f64 v[234:235], s[16:17], v[96:97], v[154:155]
	v_fmac_f64_e32 v[154:155], s[12:13], v[96:97]
	;; [unrolled: 7-line block ×13, first 2 shown]
	v_add_f64 v[0:1], v[78:79], v[114:115]
	v_fmac_f64_e32 v[46:47], v[98:99], v[48:49]
	v_add_f64 v[98:99], v[0:1], v[118:119]
	v_add_f64 v[0:1], v[114:115], v[118:119]
	v_fmac_f64_e32 v[78:79], -0.5, v[0:1]
	v_add_f64 v[0:1], v[34:35], -v[116:117]
	v_fma_f64 v[102:103], s[16:17], v[0:1], v[78:79]
	v_fmac_f64_e32 v[78:79], s[12:13], v[0:1]
	v_add_f64 v[0:1], v[80:81], v[120:121]
	v_add_f64 v[104:105], v[0:1], v[124:125]
	v_add_f64 v[0:1], v[120:121], v[124:125]
	v_fmac_f64_e32 v[80:81], -0.5, v[0:1]
	v_add_f64 v[0:1], v[122:123], -v[126:127]
	v_fma_f64 v[108:109], s[12:13], v[0:1], v[80:81]
	v_fmac_f64_e32 v[80:81], s[16:17], v[0:1]
	v_add_f64 v[0:1], v[82:83], v[122:123]
	;; [unrolled: 7-line block ×8, first 2 shown]
	v_add_f64 v[130:131], v[0:1], v[46:47]
	v_add_f64 v[0:1], v[254:255], v[46:47]
	v_fmac_f64_e32 v[94:95], -0.5, v[0:1]
	v_add_f64 v[0:1], v[252:253], -v[44:45]
	v_lshlrev_b32_e32 v12, 4, v160
	v_fma_f64 v[134:135], s[16:17], v[0:1], v[94:95]
	v_fmac_f64_e32 v[94:95], s[12:13], v[0:1]
	ds_write_b128 v248, v[240:243]
	ds_write_b128 v248, v[232:235] offset:8976
	ds_write_b128 v248, v[152:155] offset:17952
	;; [unrolled: 1-line block ×32, first 2 shown]
	v_add_co_u32_e64 v136, s[0:1], s2, v12
	v_mov_b32_e32 v4, s3
	s_waitcnt lgkmcnt(0)
	; wave barrier
	s_waitcnt lgkmcnt(0)
	v_addc_co_u32_e64 v137, s[0:1], 0, v4, s[0:1]
	global_load_dwordx4 v[4:7], v12, s[2:3]
	ds_read_b128 v[0:3], v248
	s_movk_i32 s0, 0x1000
	v_add_co_u32_e64 v140, s[0:1], s0, v136
	v_addc_co_u32_e64 v141, s[0:1], 0, v137, s[0:1]
	v_add_co_u32_e64 v142, s[0:1], s5, v136
	v_addc_co_u32_e64 v143, s[0:1], 0, v137, s[0:1]
	s_movk_i32 s0, 0x3000
	v_add_co_u32_e64 v146, s[0:1], s0, v136
	v_addc_co_u32_e64 v147, s[0:1], 0, v137, s[0:1]
	s_movk_i32 s0, 0x4000
	;; [unrolled: 3-line block ×4, first 2 shown]
	v_add_co_u32_e64 v148, s[0:1], s0, v136
	v_addc_co_u32_e64 v149, s[0:1], 0, v137, s[0:1]
	v_accvgpr_write_b32 a42, v48
	v_accvgpr_write_b32 a43, v49
	;; [unrolled: 1-line block ×4, first 2 shown]
	s_waitcnt vmcnt(0) lgkmcnt(0)
	v_mul_f64 v[8:9], v[2:3], v[6:7]
	v_mul_f64 v[10:11], v[0:1], v[6:7]
	v_fma_f64 v[8:9], v[0:1], v[4:5], -v[8:9]
	v_fmac_f64_e32 v[10:11], v[2:3], v[4:5]
	global_load_dwordx4 v[4:7], v12, s[2:3] offset:1584
	ds_read_b128 v[0:3], v248 offset:1584
	ds_write_b128 v248, v[8:11]
	s_waitcnt vmcnt(0) lgkmcnt(1)
	v_mul_f64 v[8:9], v[2:3], v[6:7]
	v_mul_f64 v[10:11], v[0:1], v[6:7]
	v_fma_f64 v[8:9], v[0:1], v[4:5], -v[8:9]
	v_fmac_f64_e32 v[10:11], v[2:3], v[4:5]
	global_load_dwordx4 v[4:7], v12, s[2:3] offset:3168
	ds_read_b128 v[0:3], v248 offset:3168
	ds_write_b128 v248, v[8:11] offset:1584
	s_waitcnt vmcnt(0) lgkmcnt(1)
	v_mul_f64 v[8:9], v[2:3], v[6:7]
	v_mul_f64 v[10:11], v[0:1], v[6:7]
	v_fma_f64 v[8:9], v[0:1], v[4:5], -v[8:9]
	v_fmac_f64_e32 v[10:11], v[2:3], v[4:5]
	global_load_dwordx4 v[4:7], v[140:141], off offset:656
	ds_read_b128 v[0:3], v248 offset:4752
	ds_write_b128 v248, v[8:11] offset:3168
	s_waitcnt vmcnt(0) lgkmcnt(1)
	v_mul_f64 v[8:9], v[2:3], v[6:7]
	v_mul_f64 v[10:11], v[0:1], v[6:7]
	v_fma_f64 v[8:9], v[0:1], v[4:5], -v[8:9]
	v_fmac_f64_e32 v[10:11], v[2:3], v[4:5]
	global_load_dwordx4 v[4:7], v[140:141], off offset:2240
	;; [unrolled: 8-line block ×14, first 2 shown]
	ds_read_b128 v[0:3], v248 offset:25344
	ds_write_b128 v248, v[8:11] offset:23760
	s_waitcnt vmcnt(0) lgkmcnt(1)
	v_mul_f64 v[8:9], v[2:3], v[6:7]
	v_mul_f64 v[10:11], v[0:1], v[6:7]
	v_fma_f64 v[8:9], v[0:1], v[4:5], -v[8:9]
	v_fmac_f64_e32 v[10:11], v[2:3], v[4:5]
	ds_write_b128 v248, v[8:11] offset:25344
	s_and_saveexec_b64 s[0:1], vcc
	s_cbranch_execz .LBB0_9
; %bb.8:
	global_load_dwordx4 v[4:7], v[136:137], off offset:816
	ds_read_b128 v[0:3], v248 offset:816
	s_waitcnt vmcnt(0) lgkmcnt(0)
	v_mul_f64 v[8:9], v[2:3], v[6:7]
	v_mul_f64 v[10:11], v[0:1], v[6:7]
	v_fma_f64 v[8:9], v[0:1], v[4:5], -v[8:9]
	v_fmac_f64_e32 v[10:11], v[2:3], v[4:5]
	global_load_dwordx4 v[4:7], v[136:137], off offset:2400
	ds_read_b128 v[0:3], v248 offset:2400
	ds_write_b128 v248, v[8:11] offset:816
	s_waitcnt vmcnt(0) lgkmcnt(1)
	v_mul_f64 v[8:9], v[2:3], v[6:7]
	v_mul_f64 v[10:11], v[0:1], v[6:7]
	v_fma_f64 v[8:9], v[0:1], v[4:5], -v[8:9]
	v_fmac_f64_e32 v[10:11], v[2:3], v[4:5]
	global_load_dwordx4 v[4:7], v[136:137], off offset:3984
	ds_read_b128 v[0:3], v248 offset:3984
	ds_write_b128 v248, v[8:11] offset:2400
	;; [unrolled: 8-line block ×14, first 2 shown]
	s_waitcnt vmcnt(0) lgkmcnt(1)
	v_mul_f64 v[8:9], v[2:3], v[6:7]
	v_mul_f64 v[10:11], v[0:1], v[6:7]
	v_fma_f64 v[8:9], v[0:1], v[4:5], -v[8:9]
	v_fmac_f64_e32 v[10:11], v[2:3], v[4:5]
	v_mov_b32_e32 v4, 0x6000
	v_accvgpr_read_b32 v6, a0
	v_lshl_or_b32 v4, v6, 4, v4
	global_load_dwordx4 v[4:7], v4, s[2:3]
	ds_read_b128 v[0:3], v248 offset:24576
	ds_write_b128 v248, v[8:11] offset:22992
	s_waitcnt vmcnt(0) lgkmcnt(1)
	v_mul_f64 v[8:9], v[2:3], v[6:7]
	v_mul_f64 v[10:11], v[0:1], v[6:7]
	v_fma_f64 v[8:9], v[0:1], v[4:5], -v[8:9]
	v_fmac_f64_e32 v[10:11], v[2:3], v[4:5]
	global_load_dwordx4 v[4:7], v[148:149], off offset:1584
	ds_read_b128 v[0:3], v248 offset:26160
	ds_write_b128 v248, v[8:11] offset:24576
	s_waitcnt vmcnt(0) lgkmcnt(1)
	v_mul_f64 v[8:9], v[2:3], v[6:7]
	v_mul_f64 v[10:11], v[0:1], v[6:7]
	v_fma_f64 v[8:9], v[0:1], v[4:5], -v[8:9]
	v_fmac_f64_e32 v[10:11], v[2:3], v[4:5]
	ds_write_b128 v248, v[8:11] offset:26160
.LBB0_9:
	s_or_b64 exec, exec, s[0:1]
	s_waitcnt lgkmcnt(0)
	; wave barrier
	s_waitcnt lgkmcnt(0)
	ds_read_b128 v[232:235], v248
	ds_read_b128 v[240:243], v248 offset:1584
	ds_read_b128 v[228:231], v248 offset:3168
	;; [unrolled: 1-line block ×16, first 2 shown]
	s_and_saveexec_b64 s[0:1], vcc
	s_cbranch_execz .LBB0_11
; %bb.10:
	ds_read_b128 v[72:75], v248 offset:816
	ds_read_b128 v[96:99], v248 offset:2400
	;; [unrolled: 1-line block ×17, first 2 shown]
.LBB0_11:
	s_or_b64 exec, exec, s[0:1]
	s_waitcnt lgkmcnt(14)
	v_add_f64 v[2:3], v[234:235], v[242:243]
	v_add_f64 v[0:1], v[232:233], v[240:241]
	;; [unrolled: 1-line block ×4, first 2 shown]
	s_waitcnt lgkmcnt(13)
	v_add_f64 v[2:3], v[2:3], v[222:223]
	v_add_f64 v[0:1], v[0:1], v[220:221]
	s_waitcnt lgkmcnt(12)
	v_add_f64 v[2:3], v[2:3], v[214:215]
	v_add_f64 v[0:1], v[0:1], v[212:213]
	;; [unrolled: 3-line block ×12, first 2 shown]
	s_waitcnt lgkmcnt(1)
	v_add_f64 v[2:3], v[2:3], v[238:239]
	s_mov_b32 s0, 0x370991
	s_mov_b32 s2, 0x75d4884
	;; [unrolled: 1-line block ×8, first 2 shown]
	v_add_f64 v[0:1], v[0:1], v[236:237]
	s_waitcnt lgkmcnt(0)
	v_add_f64 v[210:211], v[2:3], v[246:247]
	v_add_f64 v[2:3], v[242:243], v[246:247]
	s_mov_b32 s4, 0x5d8e7cdc
	s_mov_b32 s1, 0x3fedd6d0
	;; [unrolled: 1-line block ×16, first 2 shown]
	v_add_f64 v[208:209], v[0:1], v[244:245]
	v_add_f64 v[0:1], v[240:241], v[244:245]
	v_add_f64 v[4:5], v[240:241], -v[244:245]
	v_add_f64 v[6:7], v[242:243], -v[246:247]
	s_mov_b32 s5, 0xbfd71e95
	v_mul_f64 v[12:13], v[2:3], s[0:1]
	s_mov_b32 s35, 0x3fd71e95
	s_mov_b32 s34, s4
	s_mov_b32 s17, 0xbfe58eea
	v_mul_f64 v[20:21], v[2:3], s[2:3]
	s_mov_b32 s49, 0x3fe58eea
	s_mov_b32 s48, s16
	;; [unrolled: 4-line block ×5, first 2 shown]
	v_mul_f64 v[244:245], v[2:3], s[26:27]
	s_mov_b32 s55, 0x3fe9895b
	s_mov_b32 s54, s36
	;; [unrolled: 1-line block ×3, first 2 shown]
	v_mul_f64 v[254:255], v[2:3], s[30:31]
	s_mov_b32 s51, 0x3fe0d888
	s_mov_b32 s50, s40
	;; [unrolled: 1-line block ×3, first 2 shown]
	v_mul_f64 v[2:3], v[2:3], s[38:39]
	s_mov_b32 s52, s44
	v_mul_f64 v[8:9], v[6:7], s[4:5]
	v_fma_f64 v[14:15], s[34:35], v[4:5], v[12:13]
	v_fmac_f64_e32 v[12:13], s[4:5], v[4:5]
	v_mul_f64 v[16:17], v[6:7], s[16:17]
	v_fma_f64 v[22:23], s[48:49], v[4:5], v[20:21]
	v_fmac_f64_e32 v[20:21], s[16:17], v[4:5]
	;; [unrolled: 3-line block ×8, first 2 shown]
	v_add_f64 v[4:5], v[228:229], v[236:237]
	v_add_f64 v[54:55], v[228:229], -v[236:237]
	v_add_f64 v[228:229], v[230:231], -v[238:239]
	v_fma_f64 v[10:11], s[0:1], v[0:1], v[8:9]
	v_fma_f64 v[8:9], v[0:1], s[0:1], -v[8:9]
	v_fma_f64 v[18:19], s[2:3], v[0:1], v[16:17]
	v_fma_f64 v[16:17], v[0:1], s[2:3], -v[16:17]
	;; [unrolled: 2-line block ×7, first 2 shown]
	v_add_f64 v[250:251], v[234:235], v[254:255]
	v_fma_f64 v[254:255], s[38:39], v[0:1], v[6:7]
	v_fma_f64 v[0:1], v[0:1], s[38:39], -v[6:7]
	v_add_f64 v[6:7], v[230:231], v[238:239]
	v_mul_f64 v[230:231], v[228:229], s[16:17]
	v_add_f64 v[10:11], v[232:233], v[10:11]
	v_add_f64 v[8:9], v[232:233], v[8:9]
	;; [unrolled: 1-line block ×16, first 2 shown]
	v_fma_f64 v[232:233], s[2:3], v[4:5], v[230:231]
	v_add_f64 v[10:11], v[232:233], v[10:11]
	v_mul_f64 v[232:233], v[6:7], s[2:3]
	v_fma_f64 v[230:231], v[4:5], s[2:3], -v[230:231]
	v_add_f64 v[14:15], v[234:235], v[14:15]
	v_add_f64 v[12:13], v[234:235], v[12:13]
	;; [unrolled: 1-line block ×15, first 2 shown]
	v_fma_f64 v[234:235], s[48:49], v[54:55], v[232:233]
	v_add_f64 v[8:9], v[230:231], v[8:9]
	v_fmac_f64_e32 v[232:233], s[16:17], v[54:55]
	v_mul_f64 v[230:231], v[228:229], s[24:25]
	v_add_f64 v[12:13], v[232:233], v[12:13]
	v_fma_f64 v[232:233], s[18:19], v[4:5], v[230:231]
	v_add_f64 v[18:19], v[232:233], v[18:19]
	v_mul_f64 v[232:233], v[6:7], s[18:19]
	v_fma_f64 v[230:231], v[4:5], s[18:19], -v[230:231]
	v_add_f64 v[14:15], v[234:235], v[14:15]
	v_fma_f64 v[234:235], s[56:57], v[54:55], v[232:233]
	v_add_f64 v[16:17], v[230:231], v[16:17]
	v_fmac_f64_e32 v[232:233], s[24:25], v[54:55]
	v_mul_f64 v[230:231], v[228:229], s[36:37]
	v_add_f64 v[20:21], v[232:233], v[20:21]
	v_fma_f64 v[232:233], s[26:27], v[4:5], v[230:231]
	v_add_f64 v[26:27], v[232:233], v[26:27]
	v_mul_f64 v[232:233], v[6:7], s[26:27]
	v_fma_f64 v[230:231], v[4:5], s[26:27], -v[230:231]
	v_add_f64 v[22:23], v[234:235], v[22:23]
	;; [unrolled: 10-line block ×4, first 2 shown]
	v_fma_f64 v[234:235], s[40:41], v[54:55], v[232:233]
	v_add_f64 v[40:41], v[230:231], v[40:41]
	v_fmac_f64_e32 v[232:233], s[50:51], v[54:55]
	v_mul_f64 v[230:231], v[228:229], s[46:47]
	v_add_f64 v[46:47], v[234:235], v[46:47]
	v_add_f64 v[44:45], v[232:233], v[44:45]
	v_fma_f64 v[232:233], s[22:23], v[4:5], v[230:231]
	v_mul_f64 v[234:235], v[6:7], s[22:23]
	v_add_f64 v[232:233], v[232:233], v[242:243]
	v_fma_f64 v[236:237], s[28:29], v[54:55], v[234:235]
	v_fma_f64 v[230:231], v[4:5], s[22:23], -v[230:231]
	v_fmac_f64_e32 v[234:235], s[46:47], v[54:55]
	v_mul_f64 v[238:239], v[228:229], s[42:43]
	v_mul_f64 v[242:243], v[6:7], s[12:13]
	v_add_f64 v[230:231], v[230:231], v[240:241]
	v_add_f64 v[234:235], v[234:235], v[244:245]
	v_fma_f64 v[240:241], s[12:13], v[4:5], v[238:239]
	v_fma_f64 v[244:245], s[20:21], v[54:55], v[242:243]
	v_fma_f64 v[238:239], v[4:5], s[12:13], -v[238:239]
	v_fmac_f64_e32 v[242:243], s[42:43], v[54:55]
	v_mul_f64 v[228:229], v[228:229], s[34:35]
	v_add_f64 v[50:51], v[238:239], v[50:51]
	v_add_f64 v[238:239], v[242:243], v[250:251]
	v_fma_f64 v[242:243], s[0:1], v[4:5], v[228:229]
	v_mul_f64 v[6:7], v[6:7], s[0:1]
	v_fma_f64 v[4:5], v[4:5], s[0:1], -v[228:229]
	v_add_f64 v[48:49], v[244:245], v[48:49]
	v_fma_f64 v[244:245], s[4:5], v[54:55], v[6:7]
	v_add_f64 v[0:1], v[4:5], v[0:1]
	v_fmac_f64_e32 v[6:7], s[34:35], v[54:55]
	v_add_f64 v[4:5], v[220:221], v[224:225]
	v_add_f64 v[54:55], v[220:221], -v[224:225]
	v_add_f64 v[220:221], v[222:223], -v[226:227]
	v_add_f64 v[2:3], v[6:7], v[2:3]
	v_add_f64 v[6:7], v[222:223], v[226:227]
	v_mul_f64 v[222:223], v[220:221], s[20:21]
	v_fma_f64 v[224:225], s[12:13], v[4:5], v[222:223]
	v_add_f64 v[10:11], v[224:225], v[10:11]
	v_mul_f64 v[224:225], v[6:7], s[12:13]
	v_fma_f64 v[222:223], v[4:5], s[12:13], -v[222:223]
	v_fma_f64 v[226:227], s[42:43], v[54:55], v[224:225]
	v_add_f64 v[8:9], v[222:223], v[8:9]
	v_fmac_f64_e32 v[224:225], s[20:21], v[54:55]
	v_mul_f64 v[222:223], v[220:221], s[36:37]
	v_add_f64 v[12:13], v[224:225], v[12:13]
	v_fma_f64 v[224:225], s[26:27], v[4:5], v[222:223]
	v_add_f64 v[18:19], v[224:225], v[18:19]
	v_mul_f64 v[224:225], v[6:7], s[26:27]
	v_fma_f64 v[222:223], v[4:5], s[26:27], -v[222:223]
	v_add_f64 v[14:15], v[226:227], v[14:15]
	v_fma_f64 v[226:227], s[54:55], v[54:55], v[224:225]
	v_add_f64 v[16:17], v[222:223], v[16:17]
	v_fmac_f64_e32 v[224:225], s[36:37], v[54:55]
	v_mul_f64 v[222:223], v[220:221], s[52:53]
	v_add_f64 v[20:21], v[224:225], v[20:21]
	v_fma_f64 v[224:225], s[38:39], v[4:5], v[222:223]
	v_add_f64 v[26:27], v[224:225], v[26:27]
	v_mul_f64 v[224:225], v[6:7], s[38:39]
	v_fma_f64 v[222:223], v[4:5], s[38:39], -v[222:223]
	v_add_f64 v[22:23], v[226:227], v[22:23]
	;; [unrolled: 10-line block ×3, first 2 shown]
	v_fma_f64 v[226:227], s[28:29], v[54:55], v[224:225]
	v_add_f64 v[32:33], v[222:223], v[32:33]
	v_fmac_f64_e32 v[224:225], s[46:47], v[54:55]
	v_mul_f64 v[222:223], v[220:221], s[48:49]
	v_add_f64 v[36:37], v[224:225], v[36:37]
	v_fma_f64 v[224:225], s[2:3], v[4:5], v[222:223]
	v_add_f64 v[42:43], v[224:225], v[42:43]
	v_mul_f64 v[224:225], v[6:7], s[2:3]
	v_add_f64 v[38:39], v[226:227], v[38:39]
	v_fma_f64 v[226:227], s[16:17], v[54:55], v[224:225]
	v_fma_f64 v[222:223], v[4:5], s[2:3], -v[222:223]
	v_add_f64 v[46:47], v[226:227], v[46:47]
	v_add_f64 v[40:41], v[222:223], v[40:41]
	v_fmac_f64_e32 v[224:225], s[48:49], v[54:55]
	v_mul_f64 v[222:223], v[220:221], s[4:5]
	v_mul_f64 v[226:227], v[6:7], s[0:1]
	v_add_f64 v[44:45], v[224:225], v[44:45]
	v_fma_f64 v[224:225], s[0:1], v[4:5], v[222:223]
	v_fma_f64 v[228:229], s[34:35], v[54:55], v[226:227]
	v_fma_f64 v[222:223], v[4:5], s[0:1], -v[222:223]
	v_fmac_f64_e32 v[226:227], s[4:5], v[54:55]
	v_add_f64 v[236:237], v[236:237], v[246:247]
	v_add_f64 v[222:223], v[222:223], v[230:231]
	;; [unrolled: 1-line block ×3, first 2 shown]
	v_mul_f64 v[230:231], v[220:221], s[24:25]
	v_mul_f64 v[234:235], v[6:7], s[18:19]
	v_add_f64 v[224:225], v[224:225], v[232:233]
	v_add_f64 v[228:229], v[228:229], v[236:237]
	v_fma_f64 v[232:233], s[18:19], v[4:5], v[230:231]
	v_fma_f64 v[236:237], s[56:57], v[54:55], v[234:235]
	v_fma_f64 v[230:231], v[4:5], s[18:19], -v[230:231]
	v_fmac_f64_e32 v[234:235], s[24:25], v[54:55]
	v_mul_f64 v[220:221], v[220:221], s[40:41]
	v_add_f64 v[50:51], v[230:231], v[50:51]
	v_add_f64 v[230:231], v[234:235], v[238:239]
	v_fma_f64 v[234:235], s[30:31], v[4:5], v[220:221]
	v_mul_f64 v[6:7], v[6:7], s[30:31]
	v_fma_f64 v[4:5], v[4:5], s[30:31], -v[220:221]
	v_add_f64 v[48:49], v[236:237], v[48:49]
	v_fma_f64 v[236:237], s[50:51], v[54:55], v[6:7]
	v_add_f64 v[0:1], v[4:5], v[0:1]
	v_fmac_f64_e32 v[6:7], s[40:41], v[54:55]
	v_add_f64 v[4:5], v[212:213], v[216:217]
	v_add_f64 v[54:55], v[212:213], -v[216:217]
	v_add_f64 v[212:213], v[214:215], -v[218:219]
	v_add_f64 v[2:3], v[6:7], v[2:3]
	v_add_f64 v[6:7], v[214:215], v[218:219]
	v_mul_f64 v[214:215], v[212:213], s[24:25]
	v_fma_f64 v[216:217], s[18:19], v[4:5], v[214:215]
	v_add_f64 v[10:11], v[216:217], v[10:11]
	v_mul_f64 v[216:217], v[6:7], s[18:19]
	v_fma_f64 v[214:215], v[4:5], s[18:19], -v[214:215]
	v_fma_f64 v[218:219], s[56:57], v[54:55], v[216:217]
	v_add_f64 v[8:9], v[214:215], v[8:9]
	v_fmac_f64_e32 v[216:217], s[24:25], v[54:55]
	v_mul_f64 v[214:215], v[212:213], s[44:45]
	v_add_f64 v[12:13], v[216:217], v[12:13]
	v_fma_f64 v[216:217], s[38:39], v[4:5], v[214:215]
	v_add_f64 v[18:19], v[216:217], v[18:19]
	v_mul_f64 v[216:217], v[6:7], s[38:39]
	v_fma_f64 v[214:215], v[4:5], s[38:39], -v[214:215]
	v_add_f64 v[14:15], v[218:219], v[14:15]
	v_fma_f64 v[218:219], s[52:53], v[54:55], v[216:217]
	v_add_f64 v[16:17], v[214:215], v[16:17]
	v_fmac_f64_e32 v[216:217], s[44:45], v[54:55]
	v_mul_f64 v[214:215], v[212:213], s[46:47]
	v_add_f64 v[20:21], v[216:217], v[20:21]
	v_fma_f64 v[216:217], s[22:23], v[4:5], v[214:215]
	v_add_f64 v[26:27], v[216:217], v[26:27]
	v_mul_f64 v[216:217], v[6:7], s[22:23]
	v_fma_f64 v[214:215], v[4:5], s[22:23], -v[214:215]
	v_add_f64 v[22:23], v[218:219], v[22:23]
	;; [unrolled: 10-line block ×3, first 2 shown]
	v_fma_f64 v[218:219], s[4:5], v[54:55], v[216:217]
	v_add_f64 v[32:33], v[214:215], v[32:33]
	v_fmac_f64_e32 v[216:217], s[34:35], v[54:55]
	v_mul_f64 v[214:215], v[212:213], s[20:21]
	v_add_f64 v[36:37], v[216:217], v[36:37]
	v_fma_f64 v[216:217], s[12:13], v[4:5], v[214:215]
	v_add_f64 v[42:43], v[216:217], v[42:43]
	v_mul_f64 v[216:217], v[6:7], s[12:13]
	v_add_f64 v[38:39], v[218:219], v[38:39]
	v_fma_f64 v[218:219], s[42:43], v[54:55], v[216:217]
	v_fma_f64 v[214:215], v[4:5], s[12:13], -v[214:215]
	v_add_f64 v[46:47], v[218:219], v[46:47]
	v_add_f64 v[40:41], v[214:215], v[40:41]
	v_fmac_f64_e32 v[216:217], s[20:21], v[54:55]
	v_mul_f64 v[214:215], v[212:213], s[40:41]
	v_mul_f64 v[218:219], v[6:7], s[30:31]
	v_add_f64 v[44:45], v[216:217], v[44:45]
	v_fma_f64 v[216:217], s[30:31], v[4:5], v[214:215]
	v_fma_f64 v[220:221], s[50:51], v[54:55], v[218:219]
	v_fma_f64 v[214:215], v[4:5], s[30:31], -v[214:215]
	v_fmac_f64_e32 v[218:219], s[40:41], v[54:55]
	v_add_f64 v[214:215], v[214:215], v[222:223]
	v_add_f64 v[218:219], v[218:219], v[226:227]
	v_mul_f64 v[222:223], v[212:213], s[54:55]
	v_mul_f64 v[226:227], v[6:7], s[26:27]
	v_add_f64 v[216:217], v[216:217], v[224:225]
	v_add_f64 v[220:221], v[220:221], v[228:229]
	v_fma_f64 v[224:225], s[26:27], v[4:5], v[222:223]
	v_fma_f64 v[228:229], s[36:37], v[54:55], v[226:227]
	v_fma_f64 v[222:223], v[4:5], s[26:27], -v[222:223]
	v_fmac_f64_e32 v[226:227], s[54:55], v[54:55]
	v_mul_f64 v[212:213], v[212:213], s[48:49]
	v_add_f64 v[50:51], v[222:223], v[50:51]
	v_add_f64 v[222:223], v[226:227], v[230:231]
	v_fma_f64 v[226:227], s[2:3], v[4:5], v[212:213]
	v_mul_f64 v[6:7], v[6:7], s[2:3]
	v_fma_f64 v[4:5], v[4:5], s[2:3], -v[212:213]
	v_add_f64 v[48:49], v[228:229], v[48:49]
	v_fma_f64 v[228:229], s[16:17], v[54:55], v[6:7]
	v_add_f64 v[0:1], v[4:5], v[0:1]
	v_fmac_f64_e32 v[6:7], s[48:49], v[54:55]
	v_add_f64 v[4:5], v[200:201], v[204:205]
	v_add_f64 v[54:55], v[200:201], -v[204:205]
	v_add_f64 v[200:201], v[202:203], -v[206:207]
	v_add_f64 v[2:3], v[6:7], v[2:3]
	v_add_f64 v[6:7], v[202:203], v[206:207]
	v_mul_f64 v[202:203], v[200:201], s[28:29]
	v_fma_f64 v[204:205], s[22:23], v[4:5], v[202:203]
	v_add_f64 v[10:11], v[204:205], v[10:11]
	v_mul_f64 v[204:205], v[6:7], s[22:23]
	v_fma_f64 v[202:203], v[4:5], s[22:23], -v[202:203]
	v_fma_f64 v[206:207], s[46:47], v[54:55], v[204:205]
	v_add_f64 v[8:9], v[202:203], v[8:9]
	v_fmac_f64_e32 v[204:205], s[28:29], v[54:55]
	v_mul_f64 v[202:203], v[200:201], s[50:51]
	v_add_f64 v[12:13], v[204:205], v[12:13]
	v_fma_f64 v[204:205], s[30:31], v[4:5], v[202:203]
	v_add_f64 v[18:19], v[204:205], v[18:19]
	v_mul_f64 v[204:205], v[6:7], s[30:31]
	v_fma_f64 v[202:203], v[4:5], s[30:31], -v[202:203]
	v_add_f64 v[14:15], v[206:207], v[14:15]
	v_fma_f64 v[206:207], s[40:41], v[54:55], v[204:205]
	v_add_f64 v[16:17], v[202:203], v[16:17]
	v_fmac_f64_e32 v[204:205], s[50:51], v[54:55]
	v_mul_f64 v[202:203], v[200:201], s[48:49]
	v_add_f64 v[20:21], v[204:205], v[20:21]
	v_fma_f64 v[204:205], s[2:3], v[4:5], v[202:203]
	v_add_f64 v[26:27], v[204:205], v[26:27]
	v_mul_f64 v[204:205], v[6:7], s[2:3]
	v_fma_f64 v[202:203], v[4:5], s[2:3], -v[202:203]
	v_add_f64 v[22:23], v[206:207], v[22:23]
	;; [unrolled: 10-line block ×3, first 2 shown]
	v_fma_f64 v[206:207], s[42:43], v[54:55], v[204:205]
	v_add_f64 v[32:33], v[202:203], v[32:33]
	v_fmac_f64_e32 v[204:205], s[20:21], v[54:55]
	v_mul_f64 v[202:203], v[200:201], s[44:45]
	v_add_f64 v[36:37], v[204:205], v[36:37]
	v_fma_f64 v[204:205], s[38:39], v[4:5], v[202:203]
	v_add_f64 v[42:43], v[204:205], v[42:43]
	v_mul_f64 v[204:205], v[6:7], s[38:39]
	v_add_f64 v[38:39], v[206:207], v[38:39]
	v_fma_f64 v[206:207], s[52:53], v[54:55], v[204:205]
	v_fma_f64 v[202:203], v[4:5], s[38:39], -v[202:203]
	v_add_f64 v[46:47], v[206:207], v[46:47]
	v_add_f64 v[40:41], v[202:203], v[40:41]
	v_fmac_f64_e32 v[204:205], s[44:45], v[54:55]
	v_mul_f64 v[202:203], v[200:201], s[56:57]
	v_mul_f64 v[206:207], v[6:7], s[18:19]
	v_add_f64 v[44:45], v[204:205], v[44:45]
	v_fma_f64 v[204:205], s[18:19], v[4:5], v[202:203]
	v_fma_f64 v[212:213], s[24:25], v[54:55], v[206:207]
	v_fma_f64 v[202:203], v[4:5], s[18:19], -v[202:203]
	v_fmac_f64_e32 v[206:207], s[56:57], v[54:55]
	v_add_f64 v[202:203], v[202:203], v[214:215]
	v_add_f64 v[206:207], v[206:207], v[218:219]
	v_mul_f64 v[214:215], v[200:201], s[4:5]
	v_mul_f64 v[218:219], v[6:7], s[0:1]
	v_add_f64 v[204:205], v[204:205], v[216:217]
	v_add_f64 v[212:213], v[212:213], v[220:221]
	v_fma_f64 v[216:217], s[0:1], v[4:5], v[214:215]
	v_fma_f64 v[220:221], s[34:35], v[54:55], v[218:219]
	v_fma_f64 v[214:215], v[4:5], s[0:1], -v[214:215]
	v_fmac_f64_e32 v[218:219], s[4:5], v[54:55]
	v_mul_f64 v[200:201], v[200:201], s[36:37]
	v_add_f64 v[50:51], v[214:215], v[50:51]
	v_add_f64 v[214:215], v[218:219], v[222:223]
	v_fma_f64 v[218:219], s[26:27], v[4:5], v[200:201]
	v_mul_f64 v[6:7], v[6:7], s[26:27]
	v_fma_f64 v[4:5], v[4:5], s[26:27], -v[200:201]
	v_add_f64 v[48:49], v[220:221], v[48:49]
	v_fma_f64 v[220:221], s[54:55], v[54:55], v[6:7]
	v_add_f64 v[0:1], v[4:5], v[0:1]
	v_fmac_f64_e32 v[6:7], s[36:37], v[54:55]
	v_add_f64 v[4:5], v[152:153], v[156:157]
	v_add_f64 v[54:55], v[152:153], -v[156:157]
	v_add_f64 v[152:153], v[154:155], -v[158:159]
	v_add_f64 v[2:3], v[6:7], v[2:3]
	v_add_f64 v[6:7], v[154:155], v[158:159]
	v_mul_f64 v[154:155], v[152:153], s[36:37]
	v_fma_f64 v[156:157], s[26:27], v[4:5], v[154:155]
	v_add_f64 v[10:11], v[156:157], v[10:11]
	v_mul_f64 v[156:157], v[6:7], s[26:27]
	v_fma_f64 v[154:155], v[4:5], s[26:27], -v[154:155]
	v_fma_f64 v[158:159], s[54:55], v[54:55], v[156:157]
	v_add_f64 v[8:9], v[154:155], v[8:9]
	v_fmac_f64_e32 v[156:157], s[36:37], v[54:55]
	v_mul_f64 v[154:155], v[152:153], s[46:47]
	v_add_f64 v[12:13], v[156:157], v[12:13]
	v_fma_f64 v[156:157], s[22:23], v[4:5], v[154:155]
	v_add_f64 v[18:19], v[156:157], v[18:19]
	v_mul_f64 v[156:157], v[6:7], s[22:23]
	v_fma_f64 v[154:155], v[4:5], s[22:23], -v[154:155]
	v_add_f64 v[14:15], v[158:159], v[14:15]
	v_fma_f64 v[158:159], s[28:29], v[54:55], v[156:157]
	v_add_f64 v[16:17], v[154:155], v[16:17]
	v_fmac_f64_e32 v[156:157], s[46:47], v[54:55]
	v_mul_f64 v[154:155], v[152:153], s[4:5]
	v_add_f64 v[20:21], v[156:157], v[20:21]
	v_fma_f64 v[156:157], s[0:1], v[4:5], v[154:155]
	v_add_f64 v[26:27], v[156:157], v[26:27]
	v_mul_f64 v[156:157], v[6:7], s[0:1]
	v_fma_f64 v[154:155], v[4:5], s[0:1], -v[154:155]
	v_add_f64 v[22:23], v[158:159], v[22:23]
	;; [unrolled: 10-line block ×3, first 2 shown]
	v_fma_f64 v[158:159], s[50:51], v[54:55], v[156:157]
	v_add_f64 v[32:33], v[154:155], v[32:33]
	v_fmac_f64_e32 v[156:157], s[40:41], v[54:55]
	v_mul_f64 v[154:155], v[152:153], s[56:57]
	v_add_f64 v[36:37], v[156:157], v[36:37]
	v_fma_f64 v[156:157], s[18:19], v[4:5], v[154:155]
	v_add_f64 v[42:43], v[156:157], v[42:43]
	v_mul_f64 v[156:157], v[6:7], s[18:19]
	v_add_f64 v[38:39], v[158:159], v[38:39]
	v_fma_f64 v[158:159], s[24:25], v[54:55], v[156:157]
	v_fma_f64 v[154:155], v[4:5], s[18:19], -v[154:155]
	v_add_f64 v[46:47], v[158:159], v[46:47]
	v_add_f64 v[40:41], v[154:155], v[40:41]
	v_fmac_f64_e32 v[156:157], s[56:57], v[54:55]
	v_mul_f64 v[154:155], v[152:153], s[16:17]
	v_mul_f64 v[158:159], v[6:7], s[2:3]
	v_add_f64 v[44:45], v[156:157], v[44:45]
	v_fma_f64 v[156:157], s[2:3], v[4:5], v[154:155]
	v_fma_f64 v[200:201], s[48:49], v[54:55], v[158:159]
	v_fma_f64 v[154:155], v[4:5], s[2:3], -v[154:155]
	v_fmac_f64_e32 v[158:159], s[16:17], v[54:55]
	v_add_f64 v[154:155], v[154:155], v[202:203]
	v_add_f64 v[158:159], v[158:159], v[206:207]
	v_mul_f64 v[202:203], v[152:153], s[44:45]
	v_mul_f64 v[206:207], v[6:7], s[38:39]
	v_add_f64 v[156:157], v[156:157], v[204:205]
	v_add_f64 v[200:201], v[200:201], v[212:213]
	v_fma_f64 v[204:205], s[38:39], v[4:5], v[202:203]
	v_fma_f64 v[212:213], s[52:53], v[54:55], v[206:207]
	v_fma_f64 v[202:203], v[4:5], s[38:39], -v[202:203]
	v_fmac_f64_e32 v[206:207], s[44:45], v[54:55]
	v_mul_f64 v[152:153], v[152:153], s[42:43]
	v_add_f64 v[50:51], v[202:203], v[50:51]
	v_add_f64 v[202:203], v[206:207], v[214:215]
	v_fma_f64 v[206:207], s[12:13], v[4:5], v[152:153]
	v_mul_f64 v[6:7], v[6:7], s[12:13]
	v_fma_f64 v[4:5], v[4:5], s[12:13], -v[152:153]
	v_add_f64 v[48:49], v[212:213], v[48:49]
	v_fma_f64 v[212:213], s[20:21], v[54:55], v[6:7]
	v_add_f64 v[0:1], v[4:5], v[0:1]
	v_fmac_f64_e32 v[6:7], s[42:43], v[54:55]
	v_add_f64 v[4:5], v[144:145], v[148:149]
	v_add_f64 v[54:55], v[144:145], -v[148:149]
	v_add_f64 v[144:145], v[146:147], -v[150:151]
	v_add_f64 v[2:3], v[6:7], v[2:3]
	v_add_f64 v[6:7], v[146:147], v[150:151]
	v_mul_f64 v[146:147], v[144:145], s[40:41]
	v_fma_f64 v[148:149], s[30:31], v[4:5], v[146:147]
	v_add_f64 v[10:11], v[148:149], v[10:11]
	v_mul_f64 v[148:149], v[6:7], s[30:31]
	v_fma_f64 v[146:147], v[4:5], s[30:31], -v[146:147]
	v_fma_f64 v[150:151], s[50:51], v[54:55], v[148:149]
	v_add_f64 v[8:9], v[146:147], v[8:9]
	v_fmac_f64_e32 v[148:149], s[40:41], v[54:55]
	v_mul_f64 v[146:147], v[144:145], s[42:43]
	v_add_f64 v[12:13], v[148:149], v[12:13]
	v_fma_f64 v[148:149], s[12:13], v[4:5], v[146:147]
	v_add_f64 v[18:19], v[148:149], v[18:19]
	v_mul_f64 v[148:149], v[6:7], s[12:13]
	v_fma_f64 v[146:147], v[4:5], s[12:13], -v[146:147]
	v_add_f64 v[14:15], v[150:151], v[14:15]
	v_fma_f64 v[150:151], s[20:21], v[54:55], v[148:149]
	v_add_f64 v[16:17], v[146:147], v[16:17]
	v_fmac_f64_e32 v[148:149], s[42:43], v[54:55]
	v_mul_f64 v[146:147], v[144:145], s[24:25]
	v_add_f64 v[20:21], v[148:149], v[20:21]
	v_fma_f64 v[148:149], s[18:19], v[4:5], v[146:147]
	v_add_f64 v[26:27], v[148:149], v[26:27]
	v_mul_f64 v[148:149], v[6:7], s[18:19]
	v_fma_f64 v[146:147], v[4:5], s[18:19], -v[146:147]
	v_add_f64 v[22:23], v[150:151], v[22:23]
	;; [unrolled: 10-line block ×3, first 2 shown]
	v_fma_f64 v[150:151], s[36:37], v[54:55], v[148:149]
	v_add_f64 v[32:33], v[146:147], v[32:33]
	v_fmac_f64_e32 v[148:149], s[54:55], v[54:55]
	v_mul_f64 v[146:147], v[144:145], s[4:5]
	v_add_f64 v[36:37], v[148:149], v[36:37]
	v_fma_f64 v[148:149], s[0:1], v[4:5], v[146:147]
	v_add_f64 v[42:43], v[148:149], v[42:43]
	v_mul_f64 v[148:149], v[6:7], s[0:1]
	v_add_f64 v[240:241], v[240:241], v[252:253]
	v_add_f64 v[38:39], v[150:151], v[38:39]
	v_fma_f64 v[150:151], s[34:35], v[54:55], v[148:149]
	v_fma_f64 v[146:147], v[4:5], s[0:1], -v[146:147]
	v_add_f64 v[242:243], v[242:243], v[254:255]
	v_add_f64 v[232:233], v[232:233], v[240:241]
	;; [unrolled: 1-line block ×4, first 2 shown]
	v_fmac_f64_e32 v[148:149], s[4:5], v[54:55]
	v_mul_f64 v[146:147], v[144:145], s[44:45]
	v_mul_f64 v[150:151], v[6:7], s[38:39]
	v_add_f64 v[52:53], v[244:245], v[52:53]
	v_add_f64 v[234:235], v[234:235], v[242:243]
	;; [unrolled: 1-line block ×4, first 2 shown]
	v_fma_f64 v[148:149], s[38:39], v[4:5], v[146:147]
	v_fma_f64 v[152:153], s[52:53], v[54:55], v[150:151]
	v_fma_f64 v[146:147], v[4:5], s[38:39], -v[146:147]
	v_fmac_f64_e32 v[150:151], s[44:45], v[54:55]
	v_add_f64 v[52:53], v[236:237], v[52:53]
	v_add_f64 v[226:227], v[226:227], v[234:235]
	;; [unrolled: 1-line block ×5, first 2 shown]
	v_mul_f64 v[154:155], v[144:145], s[48:49]
	v_mul_f64 v[158:159], v[6:7], s[2:3]
	v_add_f64 v[52:53], v[228:229], v[52:53]
	v_add_f64 v[218:219], v[218:219], v[226:227]
	;; [unrolled: 1-line block ×5, first 2 shown]
	v_fma_f64 v[156:157], s[2:3], v[4:5], v[154:155]
	v_fma_f64 v[200:201], s[16:17], v[54:55], v[158:159]
	v_fma_f64 v[154:155], v[4:5], s[2:3], -v[154:155]
	v_fmac_f64_e32 v[158:159], s[48:49], v[54:55]
	v_mul_f64 v[144:145], v[144:145], s[28:29]
	v_mul_f64 v[6:7], v[6:7], s[22:23]
	v_add_f64 v[52:53], v[220:221], v[52:53]
	v_add_f64 v[206:207], v[206:207], v[218:219]
	;; [unrolled: 1-line block ×6, first 2 shown]
	v_fma_f64 v[158:159], s[22:23], v[4:5], v[144:145]
	v_fma_f64 v[200:201], s[46:47], v[54:55], v[6:7]
	v_fmac_f64_e32 v[6:7], s[28:29], v[54:55]
	v_add_f64 v[204:205], v[138:139], v[142:143]
	v_add_f64 v[52:53], v[212:213], v[52:53]
	;; [unrolled: 1-line block ×3, first 2 shown]
	v_fma_f64 v[4:5], v[4:5], s[22:23], -v[144:145]
	v_add_f64 v[54:55], v[6:7], v[2:3]
	v_add_f64 v[206:207], v[136:137], -v[140:141]
	v_add_f64 v[212:213], v[138:139], -v[142:143]
	v_mul_f64 v[6:7], v[204:205], s[38:39]
	v_add_f64 v[52:53], v[200:201], v[52:53]
	v_add_f64 v[200:201], v[4:5], v[0:1]
	;; [unrolled: 1-line block ×3, first 2 shown]
	v_mul_f64 v[4:5], v[212:213], s[44:45]
	v_fma_f64 v[2:3], s[52:53], v[206:207], v[6:7]
	v_fma_f64 v[0:1], s[38:39], v[202:203], v[4:5]
	v_add_f64 v[2:3], v[2:3], v[14:15]
	v_fmac_f64_e32 v[6:7], s[44:45], v[206:207]
	v_mul_f64 v[14:15], v[204:205], s[0:1]
	v_add_f64 v[0:1], v[0:1], v[10:11]
	v_fma_f64 v[4:5], v[202:203], s[38:39], -v[4:5]
	v_add_f64 v[6:7], v[6:7], v[12:13]
	v_mul_f64 v[12:13], v[212:213], s[34:35]
	v_fma_f64 v[10:11], s[4:5], v[206:207], v[14:15]
	v_add_f64 v[4:5], v[4:5], v[8:9]
	v_fma_f64 v[8:9], s[0:1], v[202:203], v[12:13]
	v_add_f64 v[10:11], v[10:11], v[22:23]
	v_fmac_f64_e32 v[14:15], s[34:35], v[206:207]
	v_mul_f64 v[22:23], v[204:205], s[30:31]
	v_add_f64 v[8:9], v[8:9], v[18:19]
	v_fma_f64 v[12:13], v[202:203], s[0:1], -v[12:13]
	v_add_f64 v[14:15], v[14:15], v[20:21]
	v_mul_f64 v[20:21], v[212:213], s[40:41]
	v_fma_f64 v[18:19], s[50:51], v[206:207], v[22:23]
	v_add_f64 v[12:13], v[12:13], v[16:17]
	v_fma_f64 v[16:17], s[30:31], v[202:203], v[20:21]
	v_add_f64 v[18:19], v[18:19], v[30:31]
	v_fmac_f64_e32 v[22:23], s[40:41], v[206:207]
	v_mul_f64 v[30:31], v[204:205], s[2:3]
	v_add_f64 v[16:17], v[16:17], v[26:27]
	v_fma_f64 v[20:21], v[202:203], s[30:31], -v[20:21]
	v_add_f64 v[22:23], v[22:23], v[28:29]
	v_mul_f64 v[28:29], v[212:213], s[48:49]
	v_fma_f64 v[26:27], s[16:17], v[206:207], v[30:31]
	v_fmac_f64_e32 v[30:31], s[48:49], v[206:207]
	v_add_f64 v[20:21], v[20:21], v[24:25]
	v_fma_f64 v[24:25], s[2:3], v[202:203], v[28:29]
	v_fma_f64 v[28:29], v[202:203], s[2:3], -v[28:29]
	v_add_f64 v[30:31], v[30:31], v[36:37]
	v_mul_f64 v[36:37], v[212:213], s[36:37]
	v_add_f64 v[28:29], v[28:29], v[32:33]
	v_fma_f64 v[32:33], s[26:27], v[202:203], v[36:37]
	v_fma_f64 v[36:37], v[202:203], s[26:27], -v[36:37]
	v_add_f64 v[36:37], v[36:37], v[40:41]
	v_mul_f64 v[40:41], v[212:213], s[42:43]
	v_add_f64 v[26:27], v[26:27], v[38:39]
	v_add_f64 v[32:33], v[32:33], v[42:43]
	v_mul_f64 v[38:39], v[204:205], s[26:27]
	v_fma_f64 v[42:43], s[12:13], v[202:203], v[40:41]
	v_add_f64 v[24:25], v[24:25], v[34:35]
	v_fma_f64 v[34:35], s[54:55], v[206:207], v[38:39]
	v_fmac_f64_e32 v[38:39], s[36:37], v[206:207]
	v_add_f64 v[136:137], v[42:43], v[148:149]
	v_mul_f64 v[42:43], v[204:205], s[12:13]
	v_fma_f64 v[40:41], v[202:203], s[12:13], -v[40:41]
	v_add_f64 v[38:39], v[38:39], v[44:45]
	v_fma_f64 v[44:45], s[20:21], v[206:207], v[42:43]
	v_add_f64 v[140:141], v[40:41], v[146:147]
	v_fmac_f64_e32 v[42:43], s[42:43], v[206:207]
	v_mul_f64 v[40:41], v[212:213], s[28:29]
	v_add_f64 v[142:143], v[42:43], v[150:151]
	v_fma_f64 v[42:43], s[22:23], v[202:203], v[40:41]
	v_add_f64 v[144:145], v[42:43], v[156:157]
	v_mul_f64 v[42:43], v[204:205], s[22:23]
	v_fma_f64 v[40:41], v[202:203], s[22:23], -v[40:41]
	v_add_f64 v[138:139], v[44:45], v[152:153]
	v_fma_f64 v[44:45], s[46:47], v[206:207], v[42:43]
	v_add_f64 v[148:149], v[40:41], v[50:51]
	v_fmac_f64_e32 v[42:43], s[28:29], v[206:207]
	v_mul_f64 v[40:41], v[212:213], s[56:57]
	v_add_f64 v[150:151], v[42:43], v[154:155]
	v_fma_f64 v[42:43], s[18:19], v[202:203], v[40:41]
	v_add_f64 v[152:153], v[42:43], v[158:159]
	v_mul_f64 v[42:43], v[204:205], s[18:19]
	v_add_f64 v[146:147], v[44:45], v[48:49]
	v_fma_f64 v[44:45], s[24:25], v[206:207], v[42:43]
	v_fma_f64 v[40:41], v[202:203], s[18:19], -v[40:41]
	v_fmac_f64_e32 v[42:43], s[56:57], v[206:207]
	v_add_f64 v[34:35], v[34:35], v[46:47]
	v_add_f64 v[154:155], v[44:45], v[52:53]
	;; [unrolled: 1-line block ×4, first 2 shown]
	s_waitcnt lgkmcnt(0)
	; wave barrier
	ds_write_b128 v249, v[208:211]
	ds_write_b128 v249, v[0:3] offset:16
	ds_write_b128 v249, v[8:11] offset:32
	;; [unrolled: 1-line block ×16, first 2 shown]
	s_and_saveexec_b64 s[58:59], vcc
	s_cbranch_execz .LBB0_13
; %bb.12:
	v_accvgpr_write_b32 a175, v173
	v_accvgpr_write_b32 a174, v172
	;; [unrolled: 1-line block ×6, first 2 shown]
	v_accvgpr_read_b32 v175, a79
	v_accvgpr_read_b32 v173, a77
	;; [unrolled: 1-line block ×4, first 2 shown]
	v_add_f64 v[20:21], v[96:97], -v[172:173]
	v_add_f64 v[18:19], v[100:101], -v[92:93]
	v_mul_f64 v[52:53], v[20:21], s[44:45]
	v_add_f64 v[242:243], v[98:99], v[174:175]
	v_add_f64 v[16:17], v[76:77], -v[132:133]
	v_mul_f64 v[50:51], v[18:19], s[34:35]
	v_add_f64 v[240:241], v[102:103], v[94:95]
	v_fma_f64 v[30:31], s[38:39], v[242:243], v[52:53]
	v_add_f64 v[14:15], v[104:105], -v[128:129]
	v_mul_f64 v[48:49], v[16:17], s[40:41]
	v_add_f64 v[238:239], v[78:79], v[134:135]
	v_fma_f64 v[28:29], s[0:1], v[240:241], v[50:51]
	v_add_f64 v[30:31], v[74:75], v[30:31]
	v_add_f64 v[12:13], v[108:109], -v[88:89]
	v_mul_f64 v[46:47], v[14:15], s[48:49]
	v_add_f64 v[236:237], v[106:107], v[130:131]
	v_fma_f64 v[26:27], s[30:31], v[238:239], v[48:49]
	v_add_f64 v[28:29], v[28:29], v[30:31]
	;; [unrolled: 5-line block ×5, first 2 shown]
	v_mul_f64 v[38:39], v[6:7], s[56:57]
	v_add_f64 v[228:229], v[118:119], v[86:87]
	v_fma_f64 v[2:3], s[22:23], v[230:231], v[40:41]
	v_add_f64 v[4:5], v[4:5], v[22:23]
	v_add_f64 v[36:37], v[98:99], -v[174:175]
	v_fma_f64 v[0:1], s[18:19], v[228:229], v[38:39]
	v_add_f64 v[2:3], v[2:3], v[4:5]
	v_add_f64 v[34:35], v[102:103], -v[94:95]
	v_add_f64 v[4:5], v[96:97], v[172:173]
	v_mul_f64 v[204:205], v[36:37], s[44:45]
	v_add_f64 v[138:139], v[0:1], v[2:3]
	v_add_f64 v[32:33], v[78:79], -v[134:135]
	v_add_f64 v[2:3], v[100:101], v[92:93]
	v_mul_f64 v[200:201], v[34:35], s[34:35]
	v_fma_f64 v[206:207], v[4:5], s[38:39], -v[204:205]
	v_fma_f64 v[52:53], v[242:243], s[38:39], -v[52:53]
	v_add_f64 v[30:31], v[106:107], -v[130:131]
	v_add_f64 v[0:1], v[76:77], v[132:133]
	v_mul_f64 v[156:157], v[32:33], s[40:41]
	v_fma_f64 v[202:203], v[2:3], s[0:1], -v[200:201]
	v_add_f64 v[206:207], v[72:73], v[206:207]
	v_fma_f64 v[50:51], v[240:241], s[0:1], -v[50:51]
	v_add_f64 v[52:53], v[74:75], v[52:53]
	v_add_f64 v[28:29], v[110:111], -v[90:91]
	v_add_f64 v[254:255], v[104:105], v[128:129]
	v_mul_f64 v[152:153], v[30:31], s[48:49]
	v_fma_f64 v[158:159], v[0:1], s[30:31], -v[156:157]
	v_add_f64 v[202:203], v[202:203], v[206:207]
	v_fma_f64 v[48:49], v[238:239], s[30:31], -v[48:49]
	v_add_f64 v[50:51], v[50:51], v[52:53]
	;; [unrolled: 7-line block ×5, first 2 shown]
	v_add_f64 v[244:245], v[116:117], v[84:85]
	v_mul_f64 v[54:55], v[22:23], s[56:57]
	v_fma_f64 v[142:143], v[246:247], s[22:23], -v[140:141]
	v_add_f64 v[146:147], v[146:147], v[150:151]
	v_fma_f64 v[40:41], v[230:231], s[22:23], -v[40:41]
	v_add_f64 v[42:43], v[42:43], v[44:45]
	;; [unrolled: 2-line block ×4, first 2 shown]
	v_fmac_f64_e32 v[204:205], s[38:39], v[4:5]
	v_add_f64 v[136:137], v[136:137], v[142:143]
	v_add_f64 v[142:143], v[38:39], v[40:41]
	v_fmac_f64_e32 v[200:201], s[0:1], v[2:3]
	v_add_f64 v[38:39], v[72:73], v[204:205]
	v_fmac_f64_e32 v[156:157], s[30:31], v[0:1]
	;; [unrolled: 2-line block ×5, first 2 shown]
	v_add_f64 v[38:39], v[148:149], v[38:39]
	v_mul_f64 v[154:155], v[20:21], s[40:41]
	v_fmac_f64_e32 v[140:141], s[22:23], v[246:247]
	v_add_f64 v[38:39], v[144:145], v[38:39]
	v_mul_f64 v[150:151], v[18:19], s[42:43]
	v_fma_f64 v[156:157], s[30:31], v[242:243], v[154:155]
	v_fmac_f64_e32 v[54:55], s[18:19], v[244:245]
	v_add_f64 v[38:39], v[140:141], v[38:39]
	v_mul_f64 v[148:149], v[16:17], s[24:25]
	v_fma_f64 v[152:153], s[12:13], v[240:241], v[150:151]
	v_add_f64 v[156:157], v[74:75], v[156:157]
	v_mul_f64 v[212:213], v[36:37], s[40:41]
	v_add_f64 v[140:141], v[54:55], v[38:39]
	v_mul_f64 v[54:55], v[14:15], s[54:55]
	v_fma_f64 v[146:147], s[18:19], v[238:239], v[148:149]
	v_add_f64 v[152:153], v[152:153], v[156:157]
	v_mul_f64 v[208:209], v[34:35], s[42:43]
	v_fma_f64 v[214:215], v[4:5], s[30:31], -v[212:213]
	v_mul_f64 v[50:51], v[12:13], s[4:5]
	v_fma_f64 v[144:145], s[26:27], v[236:237], v[54:55]
	v_add_f64 v[146:147], v[146:147], v[152:153]
	v_mul_f64 v[204:205], v[32:33], s[24:25]
	v_fma_f64 v[210:211], v[2:3], s[12:13], -v[208:209]
	v_add_f64 v[214:215], v[72:73], v[214:215]
	v_mul_f64 v[46:47], v[10:11], s[44:45]
	v_fma_f64 v[52:53], s[0:1], v[234:235], v[50:51]
	v_add_f64 v[144:145], v[144:145], v[146:147]
	v_mul_f64 v[200:201], v[30:31], s[54:55]
	v_fma_f64 v[206:207], v[0:1], s[18:19], -v[204:205]
	v_add_f64 v[210:211], v[210:211], v[214:215]
	;; [unrolled: 6-line block ×4, first 2 shown]
	v_fma_f64 v[40:41], s[22:23], v[228:229], v[38:39]
	v_add_f64 v[44:45], v[44:45], v[48:49]
	v_mul_f64 v[48:49], v[24:25], s[48:49]
	v_fma_f64 v[144:145], v[250:251], s[38:39], -v[152:153]
	v_add_f64 v[158:159], v[158:159], v[202:203]
	v_add_f64 v[146:147], v[40:41], v[44:45]
	v_mul_f64 v[40:41], v[22:23], s[28:29]
	v_fma_f64 v[52:53], v[246:247], s[2:3], -v[48:49]
	v_add_f64 v[144:145], v[144:145], v[158:159]
	v_fma_f64 v[44:45], v[244:245], s[22:23], -v[40:41]
	v_add_f64 v[52:53], v[52:53], v[144:145]
	v_add_f64 v[144:145], v[44:45], v[52:53]
	v_fma_f64 v[52:53], v[238:239], s[18:19], -v[148:149]
	v_fma_f64 v[148:149], v[242:243], s[30:31], -v[154:155]
	;; [unrolled: 1-line block ×6, first 2 shown]
	v_add_f64 v[148:149], v[74:75], v[148:149]
	v_add_f64 v[54:55], v[54:55], v[148:149]
	;; [unrolled: 1-line block ×5, first 2 shown]
	v_fma_f64 v[42:43], v[230:231], s[2:3], -v[42:43]
	v_add_f64 v[44:45], v[44:45], v[46:47]
	v_fma_f64 v[38:39], v[228:229], s[22:23], -v[38:39]
	v_add_f64 v[42:43], v[42:43], v[44:45]
	v_fmac_f64_e32 v[212:213], s[30:31], v[4:5]
	v_add_f64 v[150:151], v[38:39], v[42:43]
	v_fmac_f64_e32 v[208:209], s[12:13], v[2:3]
	;; [unrolled: 2-line block ×4, first 2 shown]
	v_add_f64 v[38:39], v[204:205], v[38:39]
	v_mul_f64 v[202:203], v[20:21], s[36:37]
	v_fmac_f64_e32 v[156:157], s[0:1], v[252:253]
	v_add_f64 v[38:39], v[200:201], v[38:39]
	v_mul_f64 v[158:159], v[18:19], s[46:47]
	v_fma_f64 v[204:205], s[26:27], v[242:243], v[202:203]
	v_add_f64 v[38:39], v[156:157], v[38:39]
	v_mul_f64 v[156:157], v[16:17], s[4:5]
	v_fma_f64 v[200:201], s[22:23], v[240:241], v[158:159]
	v_add_f64 v[204:205], v[74:75], v[204:205]
	v_mul_f64 v[220:221], v[36:37], s[36:37]
	v_fmac_f64_e32 v[152:153], s[38:39], v[250:251]
	v_mul_f64 v[54:55], v[14:15], s[40:41]
	v_fma_f64 v[154:155], s[0:1], v[238:239], v[156:157]
	v_add_f64 v[200:201], v[200:201], v[204:205]
	v_mul_f64 v[216:217], v[34:35], s[46:47]
	v_fma_f64 v[222:223], v[4:5], s[26:27], -v[220:221]
	v_add_f64 v[38:39], v[152:153], v[38:39]
	v_mul_f64 v[50:51], v[12:13], s[56:57]
	v_fma_f64 v[152:153], s[30:31], v[236:237], v[54:55]
	v_add_f64 v[154:155], v[154:155], v[200:201]
	v_mul_f64 v[212:213], v[32:33], s[4:5]
	v_fma_f64 v[218:219], v[2:3], s[22:23], -v[216:217]
	v_add_f64 v[222:223], v[72:73], v[222:223]
	v_fmac_f64_e32 v[48:49], s[2:3], v[246:247]
	v_mul_f64 v[46:47], v[10:11], s[16:17]
	v_fma_f64 v[52:53], s[18:19], v[234:235], v[50:51]
	v_add_f64 v[152:153], v[152:153], v[154:155]
	v_mul_f64 v[208:209], v[30:31], s[40:41]
	v_fma_f64 v[214:215], v[0:1], s[0:1], -v[212:213]
	v_add_f64 v[218:219], v[218:219], v[222:223]
	v_fmac_f64_e32 v[40:41], s[22:23], v[244:245]
	v_add_f64 v[38:39], v[48:49], v[38:39]
	v_mul_f64 v[42:43], v[8:9], s[44:45]
	v_fma_f64 v[48:49], s[2:3], v[232:233], v[46:47]
	v_add_f64 v[52:53], v[52:53], v[152:153]
	v_mul_f64 v[204:205], v[28:29], s[56:57]
	v_fma_f64 v[210:211], v[254:255], s[30:31], -v[208:209]
	v_add_f64 v[214:215], v[214:215], v[218:219]
	v_add_f64 v[148:149], v[40:41], v[38:39]
	v_mul_f64 v[38:39], v[6:7], s[42:43]
	v_fma_f64 v[44:45], s[38:39], v[230:231], v[42:43]
	v_add_f64 v[48:49], v[48:49], v[52:53]
	v_mul_f64 v[200:201], v[26:27], s[16:17]
	v_fma_f64 v[206:207], v[252:253], s[18:19], -v[204:205]
	v_add_f64 v[210:211], v[210:211], v[214:215]
	v_fma_f64 v[40:41], s[12:13], v[228:229], v[38:39]
	v_add_f64 v[44:45], v[44:45], v[48:49]
	v_mul_f64 v[48:49], v[24:25], s[44:45]
	v_fma_f64 v[152:153], v[250:251], s[2:3], -v[200:201]
	v_add_f64 v[206:207], v[206:207], v[210:211]
	v_add_f64 v[154:155], v[40:41], v[44:45]
	v_mul_f64 v[40:41], v[22:23], s[42:43]
	v_fma_f64 v[52:53], v[246:247], s[38:39], -v[48:49]
	v_add_f64 v[152:153], v[152:153], v[206:207]
	v_fma_f64 v[44:45], v[244:245], s[12:13], -v[40:41]
	v_add_f64 v[52:53], v[52:53], v[152:153]
	v_add_f64 v[152:153], v[44:45], v[52:53]
	v_fma_f64 v[52:53], v[238:239], s[0:1], -v[156:157]
	v_fma_f64 v[156:157], v[242:243], s[26:27], -v[202:203]
	;; [unrolled: 1-line block ×6, first 2 shown]
	v_add_f64 v[156:157], v[74:75], v[156:157]
	v_add_f64 v[54:55], v[54:55], v[156:157]
	;; [unrolled: 1-line block ×5, first 2 shown]
	v_fma_f64 v[42:43], v[230:231], s[38:39], -v[42:43]
	v_add_f64 v[44:45], v[44:45], v[46:47]
	v_fma_f64 v[38:39], v[228:229], s[12:13], -v[38:39]
	v_add_f64 v[42:43], v[42:43], v[44:45]
	v_fmac_f64_e32 v[220:221], s[26:27], v[4:5]
	v_add_f64 v[158:159], v[38:39], v[42:43]
	v_fmac_f64_e32 v[216:217], s[22:23], v[2:3]
	;; [unrolled: 2-line block ×4, first 2 shown]
	v_add_f64 v[38:39], v[212:213], v[38:39]
	v_mul_f64 v[210:211], v[20:21], s[28:29]
	v_fmac_f64_e32 v[204:205], s[18:19], v[252:253]
	v_add_f64 v[38:39], v[208:209], v[38:39]
	v_mul_f64 v[206:207], v[18:19], s[50:51]
	v_fma_f64 v[212:213], s[22:23], v[242:243], v[210:211]
	v_add_f64 v[38:39], v[204:205], v[38:39]
	v_mul_f64 v[204:205], v[16:17], s[48:49]
	v_fma_f64 v[208:209], s[30:31], v[240:241], v[206:207]
	v_add_f64 v[212:213], v[74:75], v[212:213]
	v_mul_f64 v[56:57], v[36:37], s[28:29]
	v_fmac_f64_e32 v[200:201], s[2:3], v[250:251]
	v_mul_f64 v[54:55], v[14:15], s[20:21]
	v_fma_f64 v[202:203], s[2:3], v[238:239], v[204:205]
	v_add_f64 v[208:209], v[208:209], v[212:213]
	v_mul_f64 v[224:225], v[34:35], s[50:51]
	v_fma_f64 v[58:59], v[4:5], s[22:23], -v[56:57]
	v_add_f64 v[38:39], v[200:201], v[38:39]
	v_mul_f64 v[50:51], v[12:13], s[44:45]
	v_fma_f64 v[200:201], s[12:13], v[236:237], v[54:55]
	v_add_f64 v[202:203], v[202:203], v[208:209]
	v_mul_f64 v[220:221], v[32:33], s[48:49]
	v_fma_f64 v[226:227], v[2:3], s[30:31], -v[224:225]
	v_add_f64 v[58:59], v[72:73], v[58:59]
	v_fmac_f64_e32 v[48:49], s[38:39], v[246:247]
	v_mul_f64 v[46:47], v[10:11], s[56:57]
	v_fma_f64 v[52:53], s[38:39], v[234:235], v[50:51]
	v_add_f64 v[200:201], v[200:201], v[202:203]
	v_mul_f64 v[216:217], v[30:31], s[20:21]
	v_fma_f64 v[222:223], v[0:1], s[2:3], -v[220:221]
	v_add_f64 v[58:59], v[226:227], v[58:59]
	v_fmac_f64_e32 v[40:41], s[12:13], v[244:245]
	v_add_f64 v[38:39], v[48:49], v[38:39]
	v_mul_f64 v[42:43], v[8:9], s[4:5]
	v_fma_f64 v[48:49], s[18:19], v[232:233], v[46:47]
	v_add_f64 v[52:53], v[52:53], v[200:201]
	v_mul_f64 v[212:213], v[28:29], s[44:45]
	v_fma_f64 v[218:219], v[254:255], s[12:13], -v[216:217]
	v_add_f64 v[58:59], v[222:223], v[58:59]
	v_add_f64 v[156:157], v[40:41], v[38:39]
	v_mul_f64 v[38:39], v[6:7], s[36:37]
	v_fma_f64 v[44:45], s[0:1], v[230:231], v[42:43]
	v_add_f64 v[48:49], v[48:49], v[52:53]
	v_mul_f64 v[208:209], v[26:27], s[56:57]
	v_fma_f64 v[214:215], v[252:253], s[38:39], -v[212:213]
	v_add_f64 v[58:59], v[218:219], v[58:59]
	v_fma_f64 v[40:41], s[26:27], v[228:229], v[38:39]
	v_add_f64 v[44:45], v[44:45], v[48:49]
	v_mul_f64 v[48:49], v[24:25], s[4:5]
	v_fma_f64 v[200:201], v[250:251], s[18:19], -v[208:209]
	v_add_f64 v[58:59], v[214:215], v[58:59]
	v_add_f64 v[202:203], v[40:41], v[44:45]
	v_mul_f64 v[40:41], v[22:23], s[36:37]
	v_fma_f64 v[52:53], v[246:247], s[0:1], -v[48:49]
	v_add_f64 v[58:59], v[200:201], v[58:59]
	v_fma_f64 v[44:45], v[244:245], s[26:27], -v[40:41]
	v_add_f64 v[52:53], v[52:53], v[58:59]
	;; [unrolled: 2-line block ×3, first 2 shown]
	v_fma_f64 v[44:45], v[232:233], s[18:19], -v[46:47]
	v_fma_f64 v[46:47], v[234:235], s[38:39], -v[50:51]
	v_fma_f64 v[50:51], v[236:237], s[12:13], -v[54:55]
	v_fma_f64 v[54:55], v[240:241], s[30:31], -v[206:207]
	v_add_f64 v[58:59], v[74:75], v[58:59]
	v_fma_f64 v[52:53], v[238:239], s[2:3], -v[204:205]
	v_add_f64 v[54:55], v[54:55], v[58:59]
	v_add_f64 v[52:53], v[52:53], v[54:55]
	;; [unrolled: 1-line block ×4, first 2 shown]
	v_fma_f64 v[42:43], v[230:231], s[0:1], -v[42:43]
	v_add_f64 v[44:45], v[44:45], v[46:47]
	v_fma_f64 v[38:39], v[228:229], s[26:27], -v[38:39]
	v_add_f64 v[42:43], v[42:43], v[44:45]
	v_fmac_f64_e32 v[56:57], s[22:23], v[4:5]
	v_add_f64 v[206:207], v[38:39], v[42:43]
	v_fmac_f64_e32 v[224:225], s[30:31], v[2:3]
	v_add_f64 v[38:39], v[72:73], v[56:57]
	v_fmac_f64_e32 v[220:221], s[2:3], v[0:1]
	v_add_f64 v[38:39], v[224:225], v[38:39]
	v_fmac_f64_e32 v[216:217], s[12:13], v[254:255]
	v_add_f64 v[38:39], v[220:221], v[38:39]
	v_fmac_f64_e32 v[212:213], s[38:39], v[252:253]
	v_add_f64 v[38:39], v[216:217], v[38:39]
	v_mul_f64 v[214:215], v[20:21], s[24:25]
	v_add_f64 v[38:39], v[212:213], v[38:39]
	v_mul_f64 v[212:213], v[18:19], s[44:45]
	v_fma_f64 v[216:217], s[18:19], v[242:243], v[214:215]
	v_fmac_f64_e32 v[208:209], s[18:19], v[250:251]
	v_mul_f64 v[58:59], v[16:17], s[46:47]
	v_fma_f64 v[210:211], s[38:39], v[240:241], v[212:213]
	v_add_f64 v[216:217], v[74:75], v[216:217]
	v_mul_f64 v[64:65], v[36:37], s[24:25]
	v_add_f64 v[38:39], v[208:209], v[38:39]
	v_mul_f64 v[54:55], v[14:15], s[34:35]
	v_fma_f64 v[208:209], s[22:23], v[238:239], v[58:59]
	v_add_f64 v[210:211], v[210:211], v[216:217]
	v_mul_f64 v[60:61], v[34:35], s[44:45]
	v_fma_f64 v[66:67], v[4:5], s[18:19], -v[64:65]
	v_mul_f64 v[50:51], v[12:13], s[20:21]
	v_fma_f64 v[56:57], s[0:1], v[236:237], v[54:55]
	v_add_f64 v[208:209], v[208:209], v[210:211]
	v_mul_f64 v[224:225], v[32:33], s[46:47]
	v_fma_f64 v[62:63], v[2:3], s[38:39], -v[60:61]
	v_add_f64 v[66:67], v[72:73], v[66:67]
	v_fmac_f64_e32 v[48:49], s[0:1], v[246:247]
	v_mul_f64 v[46:47], v[10:11], s[40:41]
	v_fma_f64 v[52:53], s[12:13], v[234:235], v[50:51]
	v_add_f64 v[56:57], v[56:57], v[208:209]
	v_mul_f64 v[220:221], v[30:31], s[34:35]
	v_fma_f64 v[226:227], v[0:1], s[22:23], -v[224:225]
	v_add_f64 v[62:63], v[62:63], v[66:67]
	v_fmac_f64_e32 v[40:41], s[26:27], v[244:245]
	v_add_f64 v[38:39], v[48:49], v[38:39]
	v_mul_f64 v[42:43], v[8:9], s[54:55]
	v_fma_f64 v[48:49], s[30:31], v[232:233], v[46:47]
	v_add_f64 v[52:53], v[52:53], v[56:57]
	v_mul_f64 v[216:217], v[28:29], s[20:21]
	v_fma_f64 v[222:223], v[254:255], s[0:1], -v[220:221]
	v_add_f64 v[62:63], v[226:227], v[62:63]
	v_add_f64 v[204:205], v[40:41], v[38:39]
	v_mul_f64 v[38:39], v[6:7], s[48:49]
	v_fma_f64 v[44:45], s[26:27], v[230:231], v[42:43]
	v_add_f64 v[48:49], v[48:49], v[52:53]
	v_mul_f64 v[56:57], v[26:27], s[40:41]
	v_fma_f64 v[218:219], v[252:253], s[12:13], -v[216:217]
	v_add_f64 v[62:63], v[222:223], v[62:63]
	v_fma_f64 v[40:41], s[2:3], v[228:229], v[38:39]
	v_add_f64 v[44:45], v[44:45], v[48:49]
	v_mul_f64 v[48:49], v[24:25], s[54:55]
	v_fma_f64 v[208:209], v[250:251], s[30:31], -v[56:57]
	v_add_f64 v[62:63], v[218:219], v[62:63]
	v_add_f64 v[210:211], v[40:41], v[44:45]
	v_mul_f64 v[40:41], v[22:23], s[48:49]
	v_fma_f64 v[52:53], v[246:247], s[26:27], -v[48:49]
	v_add_f64 v[62:63], v[208:209], v[62:63]
	v_fma_f64 v[44:45], v[244:245], s[2:3], -v[40:41]
	v_add_f64 v[52:53], v[52:53], v[62:63]
	v_add_f64 v[208:209], v[44:45], v[52:53]
	v_fma_f64 v[52:53], v[238:239], s[22:23], -v[58:59]
	v_fma_f64 v[58:59], v[242:243], s[18:19], -v[214:215]
	;; [unrolled: 1-line block ×6, first 2 shown]
	v_add_f64 v[58:59], v[74:75], v[58:59]
	v_add_f64 v[54:55], v[54:55], v[58:59]
	;; [unrolled: 1-line block ×5, first 2 shown]
	v_fma_f64 v[42:43], v[230:231], s[26:27], -v[42:43]
	v_add_f64 v[44:45], v[44:45], v[46:47]
	v_fma_f64 v[38:39], v[228:229], s[2:3], -v[38:39]
	v_add_f64 v[42:43], v[42:43], v[44:45]
	v_fmac_f64_e32 v[64:65], s[18:19], v[4:5]
	v_add_f64 v[214:215], v[38:39], v[42:43]
	v_fmac_f64_e32 v[60:61], s[38:39], v[2:3]
	;; [unrolled: 2-line block ×5, first 2 shown]
	v_add_f64 v[38:39], v[220:221], v[38:39]
	v_mul_f64 v[66:67], v[20:21], s[20:21]
	v_add_f64 v[38:39], v[216:217], v[38:39]
	v_mul_f64 v[62:63], v[18:19], s[36:37]
	v_fma_f64 v[216:217], s[12:13], v[242:243], v[66:67]
	v_mul_f64 v[58:59], v[16:17], s[52:53]
	v_fma_f64 v[64:65], s[26:27], v[240:241], v[62:63]
	v_add_f64 v[216:217], v[74:75], v[216:217]
	v_mov_b32_e32 v249, v161
	v_mul_f64 v[160:161], v[36:37], s[20:21]
	v_accvgpr_write_b32 a76, v162
	v_fmac_f64_e32 v[56:57], s[30:31], v[250:251]
	v_mul_f64 v[54:55], v[14:15], s[46:47]
	v_fma_f64 v[60:61], s[38:39], v[238:239], v[58:59]
	v_add_f64 v[64:65], v[64:65], v[216:217]
	v_mul_f64 v[68:69], v[34:35], s[36:37]
	v_accvgpr_write_b32 a77, v163
	v_accvgpr_write_b32 a78, v164
	;; [unrolled: 1-line block ×3, first 2 shown]
	v_fma_f64 v[162:163], v[4:5], s[12:13], -v[160:161]
	v_add_f64 v[38:39], v[56:57], v[38:39]
	v_mul_f64 v[50:51], v[12:13], s[48:49]
	v_fma_f64 v[56:57], s[22:23], v[236:237], v[54:55]
	v_add_f64 v[60:61], v[60:61], v[64:65]
	v_mul_f64 v[224:225], v[32:33], s[52:53]
	v_fma_f64 v[70:71], v[2:3], s[26:27], -v[68:69]
	v_add_f64 v[162:163], v[72:73], v[162:163]
	v_fmac_f64_e32 v[48:49], s[26:27], v[246:247]
	v_mul_f64 v[46:47], v[10:11], s[4:5]
	v_fma_f64 v[52:53], s[2:3], v[234:235], v[50:51]
	v_add_f64 v[56:57], v[56:57], v[60:61]
	v_mul_f64 v[220:221], v[30:31], s[46:47]
	v_fma_f64 v[226:227], v[0:1], s[38:39], -v[224:225]
	v_add_f64 v[70:71], v[70:71], v[162:163]
	v_fmac_f64_e32 v[40:41], s[2:3], v[244:245]
	v_add_f64 v[38:39], v[48:49], v[38:39]
	v_mul_f64 v[42:43], v[8:9], s[24:25]
	v_fma_f64 v[48:49], s[0:1], v[232:233], v[46:47]
	v_add_f64 v[52:53], v[52:53], v[56:57]
	v_mul_f64 v[64:65], v[28:29], s[48:49]
	v_fma_f64 v[222:223], v[254:255], s[22:23], -v[220:221]
	v_add_f64 v[70:71], v[226:227], v[70:71]
	v_add_f64 v[212:213], v[40:41], v[38:39]
	v_mul_f64 v[38:39], v[6:7], s[40:41]
	v_fma_f64 v[44:45], s[18:19], v[230:231], v[42:43]
	v_add_f64 v[48:49], v[48:49], v[52:53]
	v_mul_f64 v[56:57], v[26:27], s[4:5]
	v_fma_f64 v[216:217], v[252:253], s[2:3], -v[64:65]
	v_add_f64 v[70:71], v[222:223], v[70:71]
	v_fma_f64 v[40:41], s[30:31], v[228:229], v[38:39]
	v_add_f64 v[44:45], v[44:45], v[48:49]
	v_mul_f64 v[48:49], v[24:25], s[24:25]
	v_fma_f64 v[60:61], v[250:251], s[0:1], -v[56:57]
	v_add_f64 v[70:71], v[216:217], v[70:71]
	v_add_f64 v[218:219], v[40:41], v[44:45]
	v_mul_f64 v[40:41], v[22:23], s[40:41]
	v_fma_f64 v[52:53], v[246:247], s[18:19], -v[48:49]
	v_add_f64 v[60:61], v[60:61], v[70:71]
	v_fma_f64 v[44:45], v[244:245], s[30:31], -v[40:41]
	v_add_f64 v[52:53], v[52:53], v[60:61]
	v_add_f64 v[216:217], v[44:45], v[52:53]
	v_fma_f64 v[52:53], v[238:239], s[38:39], -v[58:59]
	v_fma_f64 v[58:59], v[242:243], s[12:13], -v[66:67]
	v_fma_f64 v[44:45], v[232:233], s[0:1], -v[46:47]
	v_fma_f64 v[46:47], v[234:235], s[2:3], -v[50:51]
	v_fma_f64 v[50:51], v[236:237], s[22:23], -v[54:55]
	v_fma_f64 v[54:55], v[240:241], s[26:27], -v[62:63]
	v_add_f64 v[58:59], v[74:75], v[58:59]
	v_add_f64 v[54:55], v[54:55], v[58:59]
	;; [unrolled: 1-line block ×5, first 2 shown]
	v_fma_f64 v[42:43], v[230:231], s[18:19], -v[42:43]
	v_add_f64 v[44:45], v[44:45], v[46:47]
	v_fma_f64 v[38:39], v[228:229], s[30:31], -v[38:39]
	v_add_f64 v[42:43], v[42:43], v[44:45]
	v_fmac_f64_e32 v[160:161], s[12:13], v[4:5]
	v_add_f64 v[226:227], v[38:39], v[42:43]
	v_fmac_f64_e32 v[68:69], s[26:27], v[2:3]
	;; [unrolled: 2-line block ×4, first 2 shown]
	v_add_f64 v[38:39], v[224:225], v[38:39]
	v_mul_f64 v[66:67], v[20:21], s[16:17]
	v_fmac_f64_e32 v[64:65], s[2:3], v[252:253]
	v_add_f64 v[38:39], v[220:221], v[38:39]
	v_mul_f64 v[62:63], v[18:19], s[24:25]
	v_fma_f64 v[68:69], s[2:3], v[242:243], v[66:67]
	v_accvgpr_write_b32 a171, v169
	v_add_f64 v[38:39], v[64:65], v[38:39]
	v_mul_f64 v[58:59], v[16:17], s[36:37]
	v_fma_f64 v[64:65], s[18:19], v[240:241], v[62:63]
	v_add_f64 v[68:69], v[74:75], v[68:69]
	v_accvgpr_write_b32 a170, v168
	v_accvgpr_write_b32 a169, v167
	;; [unrolled: 1-line block ×3, first 2 shown]
	v_mul_f64 v[168:169], v[36:37], s[16:17]
	v_fmac_f64_e32 v[56:57], s[0:1], v[250:251]
	v_mul_f64 v[54:55], v[14:15], s[44:45]
	v_fma_f64 v[60:61], s[26:27], v[238:239], v[58:59]
	v_add_f64 v[64:65], v[64:65], v[68:69]
	v_mul_f64 v[164:165], v[34:35], s[24:25]
	v_fma_f64 v[170:171], v[4:5], s[2:3], -v[168:169]
	v_add_f64 v[38:39], v[56:57], v[38:39]
	v_mul_f64 v[50:51], v[12:13], s[50:51]
	v_fma_f64 v[56:57], s[38:39], v[236:237], v[54:55]
	v_add_f64 v[60:61], v[60:61], v[64:65]
	v_mul_f64 v[162:163], v[32:33], s[36:37]
	v_fma_f64 v[166:167], v[2:3], s[18:19], -v[164:165]
	v_add_f64 v[170:171], v[72:73], v[170:171]
	v_fmac_f64_e32 v[48:49], s[18:19], v[246:247]
	v_mul_f64 v[46:47], v[10:11], s[46:47]
	v_fma_f64 v[52:53], s[30:31], v[234:235], v[50:51]
	v_add_f64 v[56:57], v[56:57], v[60:61]
	v_mul_f64 v[70:71], v[30:31], s[44:45]
	v_fma_f64 v[220:221], v[0:1], s[26:27], -v[162:163]
	v_add_f64 v[166:167], v[166:167], v[170:171]
	v_fmac_f64_e32 v[40:41], s[30:31], v[244:245]
	v_add_f64 v[38:39], v[48:49], v[38:39]
	v_mul_f64 v[42:43], v[8:9], s[42:43]
	v_fma_f64 v[48:49], s[22:23], v[232:233], v[46:47]
	v_add_f64 v[52:53], v[52:53], v[56:57]
	v_mul_f64 v[64:65], v[28:29], s[50:51]
	v_fma_f64 v[160:161], v[254:255], s[38:39], -v[70:71]
	v_add_f64 v[166:167], v[220:221], v[166:167]
	v_add_f64 v[224:225], v[40:41], v[38:39]
	v_mul_f64 v[38:39], v[6:7], s[34:35]
	v_fma_f64 v[44:45], s[12:13], v[230:231], v[42:43]
	v_add_f64 v[48:49], v[48:49], v[52:53]
	v_mul_f64 v[56:57], v[26:27], s[46:47]
	v_fma_f64 v[68:69], v[252:253], s[30:31], -v[64:65]
	v_add_f64 v[160:161], v[160:161], v[166:167]
	v_fma_f64 v[40:41], s[0:1], v[228:229], v[38:39]
	v_add_f64 v[44:45], v[44:45], v[48:49]
	v_mul_f64 v[48:49], v[24:25], s[42:43]
	v_fma_f64 v[60:61], v[250:251], s[22:23], -v[56:57]
	v_add_f64 v[68:69], v[68:69], v[160:161]
	v_add_f64 v[222:223], v[40:41], v[44:45]
	v_mul_f64 v[44:45], v[22:23], s[34:35]
	v_fma_f64 v[52:53], v[246:247], s[12:13], -v[48:49]
	v_add_f64 v[60:61], v[60:61], v[68:69]
	v_fma_f64 v[40:41], v[244:245], s[0:1], -v[44:45]
	v_add_f64 v[52:53], v[52:53], v[60:61]
	v_add_f64 v[220:221], v[40:41], v[52:53]
	v_fma_f64 v[52:53], v[238:239], s[26:27], -v[58:59]
	v_fma_f64 v[58:59], v[242:243], s[2:3], -v[66:67]
	;; [unrolled: 1-line block ×7, first 2 shown]
	v_add_f64 v[58:59], v[74:75], v[58:59]
	v_add_f64 v[54:55], v[54:55], v[58:59]
	;; [unrolled: 1-line block ×6, first 2 shown]
	v_fma_f64 v[38:39], v[228:229], s[0:1], -v[38:39]
	v_add_f64 v[40:41], v[40:41], v[42:43]
	v_fmac_f64_e32 v[168:169], s[2:3], v[4:5]
	v_add_f64 v[40:41], v[38:39], v[40:41]
	v_fmac_f64_e32 v[164:165], s[18:19], v[2:3]
	;; [unrolled: 2-line block ×6, first 2 shown]
	v_add_f64 v[38:39], v[64:65], v[38:39]
	v_mul_f64 v[20:21], v[20:21], s[4:5]
	v_add_f64 v[38:39], v[56:57], v[38:39]
	v_mul_f64 v[18:19], v[18:19], s[16:17]
	v_fma_f64 v[56:57], s[0:1], v[242:243], v[20:21]
	v_mul_f64 v[16:17], v[16:17], s[20:21]
	v_fma_f64 v[54:55], s[2:3], v[240:241], v[18:19]
	v_add_f64 v[56:57], v[74:75], v[56:57]
	v_mul_f64 v[36:37], v[36:37], s[4:5]
	v_fma_f64 v[52:53], s[12:13], v[238:239], v[16:17]
	v_add_f64 v[54:55], v[54:55], v[56:57]
	v_mul_f64 v[32:33], v[32:33], s[20:21]
	v_mul_f64 v[34:35], v[34:35], s[16:17]
	v_fma_f64 v[58:59], v[4:5], s[0:1], -v[36:37]
	v_fma_f64 v[20:21], v[242:243], s[0:1], -v[20:21]
	v_fmac_f64_e32 v[36:37], s[0:1], v[4:5]
	v_mul_f64 v[14:15], v[14:15], s[24:25]
	v_add_f64 v[52:53], v[52:53], v[54:55]
	v_fma_f64 v[54:55], v[0:1], s[12:13], -v[32:33]
	v_fma_f64 v[56:57], v[2:3], s[2:3], -v[34:35]
	;; [unrolled: 1-line block ×3, first 2 shown]
	v_add_f64 v[20:21], v[74:75], v[20:21]
	v_fmac_f64_e32 v[32:33], s[12:13], v[0:1]
	v_fmac_f64_e32 v[34:35], s[2:3], v[2:3]
	v_add_f64 v[0:1], v[72:73], v[36:37]
	v_fmac_f64_e32 v[48:49], s[12:13], v[246:247]
	v_mul_f64 v[12:13], v[12:13], s[28:29]
	v_fma_f64 v[50:51], s[18:19], v[236:237], v[14:15]
	v_mul_f64 v[30:31], v[30:31], s[24:25]
	v_fma_f64 v[16:17], v[238:239], s[12:13], -v[16:17]
	v_add_f64 v[18:19], v[18:19], v[20:21]
	v_add_f64 v[0:1], v[34:35], v[0:1]
	v_fmac_f64_e32 v[44:45], s[0:1], v[244:245]
	v_add_f64 v[38:39], v[48:49], v[38:39]
	v_mul_f64 v[10:11], v[10:11], s[36:37]
	v_fma_f64 v[48:49], s[22:23], v[234:235], v[12:13]
	v_add_f64 v[50:51], v[50:51], v[52:53]
	v_mul_f64 v[28:29], v[28:29], s[28:29]
	v_fma_f64 v[52:53], v[254:255], s[18:19], -v[30:31]
	v_fma_f64 v[14:15], v[236:237], s[18:19], -v[14:15]
	v_add_f64 v[16:17], v[16:17], v[18:19]
	v_fmac_f64_e32 v[30:31], s[18:19], v[254:255]
	v_add_f64 v[0:1], v[32:33], v[0:1]
	v_add_f64 v[38:39], v[44:45], v[38:39]
	v_mul_f64 v[44:45], v[8:9], s[40:41]
	v_fma_f64 v[46:47], s[26:27], v[232:233], v[10:11]
	v_add_f64 v[48:49], v[48:49], v[50:51]
	v_mul_f64 v[26:27], v[26:27], s[36:37]
	v_fma_f64 v[50:51], v[252:253], s[22:23], -v[28:29]
	v_fma_f64 v[12:13], v[234:235], s[22:23], -v[12:13]
	v_add_f64 v[14:15], v[14:15], v[16:17]
	v_fmac_f64_e32 v[28:29], s[22:23], v[252:253]
	v_add_f64 v[0:1], v[30:31], v[0:1]
	v_mul_f64 v[42:43], v[6:7], s[44:45]
	v_fma_f64 v[8:9], s[30:31], v[230:231], v[44:45]
	v_add_f64 v[46:47], v[46:47], v[48:49]
	v_mul_f64 v[24:25], v[24:25], s[40:41]
	v_fma_f64 v[48:49], v[250:251], s[26:27], -v[26:27]
	v_fma_f64 v[10:11], v[232:233], s[26:27], -v[10:11]
	v_add_f64 v[12:13], v[12:13], v[14:15]
	v_fmac_f64_e32 v[26:27], s[26:27], v[250:251]
	v_add_f64 v[0:1], v[28:29], v[0:1]
	v_fma_f64 v[6:7], s[38:39], v[228:229], v[42:43]
	v_add_f64 v[8:9], v[8:9], v[46:47]
	v_mul_f64 v[22:23], v[22:23], s[44:45]
	v_fma_f64 v[46:47], v[246:247], s[30:31], -v[24:25]
	v_fma_f64 v[44:45], v[230:231], s[30:31], -v[44:45]
	v_add_f64 v[10:11], v[10:11], v[12:13]
	v_fmac_f64_e32 v[24:25], s[30:31], v[246:247]
	v_add_f64 v[0:1], v[26:27], v[0:1]
	v_add_f64 v[8:9], v[6:7], v[8:9]
	v_fma_f64 v[6:7], v[244:245], s[38:39], -v[22:23]
	v_fma_f64 v[42:43], v[228:229], s[38:39], -v[42:43]
	v_add_f64 v[10:11], v[44:45], v[10:11]
	v_fmac_f64_e32 v[22:23], s[38:39], v[244:245]
	v_add_f64 v[0:1], v[24:25], v[0:1]
	v_add_f64 v[12:13], v[42:43], v[10:11]
	v_add_f64 v[10:11], v[22:23], v[0:1]
	v_add_f64 v[0:1], v[74:75], v[98:99]
	v_add_f64 v[0:1], v[0:1], v[102:103]
	v_add_f64 v[0:1], v[0:1], v[78:79]
	v_add_f64 v[0:1], v[0:1], v[106:107]
	v_add_f64 v[0:1], v[0:1], v[110:111]
	v_add_f64 v[0:1], v[0:1], v[82:83]
	v_add_f64 v[0:1], v[0:1], v[114:115]
	v_add_f64 v[0:1], v[0:1], v[118:119]
	v_add_f64 v[0:1], v[0:1], v[86:87]
	v_add_f64 v[0:1], v[0:1], v[122:123]
	v_add_f64 v[0:1], v[0:1], v[126:127]
	v_add_f64 v[0:1], v[0:1], v[90:91]
	v_add_f64 v[0:1], v[0:1], v[130:131]
	v_add_f64 v[0:1], v[0:1], v[134:135]
	v_add_f64 v[0:1], v[0:1], v[94:95]
	v_add_f64 v[2:3], v[0:1], v[174:175]
	v_add_f64 v[0:1], v[72:73], v[96:97]
	v_add_f64 v[0:1], v[0:1], v[100:101]
	v_add_f64 v[0:1], v[0:1], v[76:77]
	v_add_f64 v[0:1], v[0:1], v[104:105]
	v_add_f64 v[0:1], v[0:1], v[108:109]
	v_add_f64 v[0:1], v[0:1], v[80:81]
	v_add_f64 v[0:1], v[0:1], v[112:113]
	v_add_f64 v[0:1], v[0:1], v[116:117]
	v_add_f64 v[0:1], v[0:1], v[84:85]
	v_add_f64 v[0:1], v[0:1], v[120:121]
	v_add_f64 v[58:59], v[72:73], v[58:59]
	v_add_f64 v[0:1], v[0:1], v[124:125]
	v_add_f64 v[56:57], v[56:57], v[58:59]
	v_add_f64 v[0:1], v[0:1], v[88:89]
	v_add_f64 v[54:55], v[54:55], v[56:57]
	v_add_f64 v[0:1], v[0:1], v[128:129]
	v_add_f64 v[52:53], v[52:53], v[54:55]
	v_add_f64 v[0:1], v[0:1], v[132:133]
	v_add_f64 v[50:51], v[50:51], v[52:53]
	v_add_f64 v[0:1], v[0:1], v[92:93]
	v_accvgpr_read_b32 v4, a74
	v_accvgpr_read_b32 v166, a168
	;; [unrolled: 1-line block ×3, first 2 shown]
	v_add_f64 v[48:49], v[48:49], v[50:51]
	v_add_f64 v[0:1], v[0:1], v[172:173]
	v_accvgpr_read_b32 v170, a172
	v_mul_u32_u24_e32 v4, 17, v4
	v_mov_b32_e32 v161, v249
	v_accvgpr_read_b32 v167, a169
	v_accvgpr_read_b32 v168, a170
	;; [unrolled: 1-line block ×6, first 2 shown]
	v_add_f64 v[46:47], v[46:47], v[48:49]
	v_accvgpr_read_b32 v175, a75
	v_accvgpr_read_b32 v174, a5
	;; [unrolled: 1-line block ×5, first 2 shown]
	v_lshlrev_b32_e32 v4, 4, v4
	v_add_f64 v[6:7], v[6:7], v[46:47]
	ds_write_b128 v4, v[0:3]
	ds_write_b128 v4, v[10:13] offset:16
	ds_write_b128 v4, v[38:41] offset:32
	ds_write_b128 v4, v[224:227] offset:48
	ds_write_b128 v4, v[212:215] offset:64
	ds_write_b128 v4, v[204:207] offset:80
	ds_write_b128 v4, v[156:159] offset:96
	ds_write_b128 v4, v[148:151] offset:112
	ds_write_b128 v4, v[140:143] offset:128
	ds_write_b128 v4, v[136:139] offset:144
	ds_write_b128 v4, v[144:147] offset:160
	ds_write_b128 v4, v[152:155] offset:176
	ds_write_b128 v4, v[200:203] offset:192
	ds_write_b128 v4, v[208:211] offset:208
	ds_write_b128 v4, v[216:219] offset:224
	ds_write_b128 v4, v[220:223] offset:240
	ds_write_b128 v4, v[6:9] offset:256
.LBB0_13:
	s_or_b64 exec, exec, s[58:59]
	s_waitcnt lgkmcnt(0)
	; wave barrier
	s_waitcnt lgkmcnt(0)
	ds_read_b128 v[76:79], v248 offset:8976
	ds_read_b128 v[72:75], v248 offset:8160
	v_accvgpr_read_b32 v2, a84
	v_accvgpr_read_b32 v4, a86
	;; [unrolled: 1-line block ×4, first 2 shown]
	s_waitcnt lgkmcnt(1)
	v_mul_f64 v[200:201], v[4:5], v[78:79]
	v_mul_f64 v[0:1], v[4:5], v[76:77]
	v_fmac_f64_e32 v[200:201], v[2:3], v[76:77]
	v_fma_f64 v[202:203], v[2:3], v[78:79], -v[0:1]
	ds_read_b128 v[0:3], v248 offset:17952
	ds_read_b128 v[4:7], v248 offset:18768
	v_accvgpr_read_b32 v8, a80
	v_accvgpr_read_b32 v10, a82
	v_accvgpr_read_b32 v11, a83
	v_accvgpr_read_b32 v9, a81
	s_waitcnt lgkmcnt(1)
	v_mul_f64 v[204:205], v[10:11], v[2:3]
	v_fmac_f64_e32 v[204:205], v[8:9], v[0:1]
	v_mul_f64 v[0:1], v[10:11], v[0:1]
	v_fma_f64 v[206:207], v[8:9], v[2:3], -v[0:1]
	ds_read_b128 v[0:3], v248 offset:9792
	ds_read_b128 v[8:11], v248 offset:10608
	v_accvgpr_read_b32 v12, a92
	v_accvgpr_read_b32 v14, a94
	v_accvgpr_read_b32 v15, a95
	v_accvgpr_read_b32 v13, a93
	s_waitcnt lgkmcnt(1)
	v_mul_f64 v[152:153], v[14:15], v[2:3]
	v_fmac_f64_e32 v[152:153], v[12:13], v[0:1]
	v_mul_f64 v[0:1], v[14:15], v[0:1]
	v_fma_f64 v[154:155], v[12:13], v[2:3], -v[0:1]
	v_accvgpr_read_b32 v12, a88
	v_accvgpr_read_b32 v14, a90
	v_accvgpr_read_b32 v15, a91
	v_accvgpr_read_b32 v13, a89
	v_mul_f64 v[156:157], v[14:15], v[6:7]
	v_fmac_f64_e32 v[156:157], v[12:13], v[4:5]
	v_mul_f64 v[0:1], v[14:15], v[4:5]
	v_accvgpr_read_b32 v2, a100
	v_accvgpr_read_b32 v4, a102
	v_accvgpr_read_b32 v5, a103
	v_fma_f64 v[158:159], v[12:13], v[6:7], -v[0:1]
	v_accvgpr_read_b32 v3, a101
	s_waitcnt lgkmcnt(0)
	v_mul_f64 v[144:145], v[4:5], v[10:11]
	v_mul_f64 v[0:1], v[4:5], v[8:9]
	v_fmac_f64_e32 v[144:145], v[2:3], v[8:9]
	v_fma_f64 v[146:147], v[2:3], v[10:11], -v[0:1]
	ds_read_b128 v[0:3], v248 offset:19584
	ds_read_b128 v[4:7], v248 offset:20400
	v_accvgpr_read_b32 v8, a96
	v_accvgpr_read_b32 v10, a98
	v_accvgpr_read_b32 v11, a99
	v_accvgpr_read_b32 v9, a97
	s_waitcnt lgkmcnt(1)
	v_mul_f64 v[148:149], v[10:11], v[2:3]
	v_fmac_f64_e32 v[148:149], v[8:9], v[0:1]
	v_mul_f64 v[0:1], v[10:11], v[0:1]
	v_fma_f64 v[150:151], v[8:9], v[2:3], -v[0:1]
	ds_read_b128 v[0:3], v248 offset:11424
	ds_read_b128 v[8:11], v248 offset:12240
	v_accvgpr_read_b32 v12, a108
	v_accvgpr_read_b32 v14, a110
	v_accvgpr_read_b32 v15, a111
	v_accvgpr_read_b32 v13, a109
	s_waitcnt lgkmcnt(1)
	v_mul_f64 v[136:137], v[14:15], v[2:3]
	v_fmac_f64_e32 v[136:137], v[12:13], v[0:1]
	v_mul_f64 v[0:1], v[14:15], v[0:1]
	v_fma_f64 v[138:139], v[12:13], v[2:3], -v[0:1]
	v_accvgpr_read_b32 v12, a104
	v_accvgpr_read_b32 v14, a106
	v_accvgpr_read_b32 v15, a107
	v_accvgpr_read_b32 v13, a105
	v_mul_f64 v[140:141], v[14:15], v[6:7]
	v_fmac_f64_e32 v[140:141], v[12:13], v[4:5]
	v_mul_f64 v[0:1], v[14:15], v[4:5]
	v_accvgpr_read_b32 v2, a116
	v_accvgpr_read_b32 v4, a118
	v_accvgpr_read_b32 v5, a119
	v_fma_f64 v[142:143], v[12:13], v[6:7], -v[0:1]
	v_accvgpr_read_b32 v3, a117
	;; [unrolled: 39-line block ×4, first 2 shown]
	s_waitcnt lgkmcnt(0)
	v_mul_f64 v[16:17], v[4:5], v[10:11]
	v_mul_f64 v[0:1], v[4:5], v[8:9]
	v_fmac_f64_e32 v[16:17], v[2:3], v[8:9]
	v_fma_f64 v[18:19], v[2:3], v[10:11], -v[0:1]
	ds_read_b128 v[0:3], v248 offset:24480
	ds_read_b128 v[4:7], v248 offset:25296
	v_accvgpr_read_b32 v8, a144
	v_accvgpr_read_b32 v10, a146
	;; [unrolled: 1-line block ×4, first 2 shown]
	s_waitcnt lgkmcnt(1)
	v_mul_f64 v[20:21], v[10:11], v[2:3]
	v_fmac_f64_e32 v[20:21], v[8:9], v[0:1]
	v_mul_f64 v[0:1], v[10:11], v[0:1]
	v_fma_f64 v[22:23], v[8:9], v[2:3], -v[0:1]
	ds_read_b128 v[0:3], v248 offset:16320
	ds_read_b128 v[40:43], v248 offset:17136
	v_accvgpr_read_b32 v10, a156
	v_accvgpr_read_b32 v12, a158
	;; [unrolled: 1-line block ×4, first 2 shown]
	s_waitcnt lgkmcnt(1)
	v_mul_f64 v[8:9], v[12:13], v[2:3]
	v_accvgpr_read_b32 v44, a152
	v_fmac_f64_e32 v[8:9], v[10:11], v[0:1]
	v_mul_f64 v[0:1], v[12:13], v[0:1]
	v_accvgpr_read_b32 v46, a154
	v_accvgpr_read_b32 v47, a155
	v_fma_f64 v[10:11], v[10:11], v[2:3], -v[0:1]
	v_accvgpr_read_b32 v45, a153
	v_mul_f64 v[12:13], v[46:47], v[6:7]
	v_mul_f64 v[0:1], v[46:47], v[4:5]
	v_fmac_f64_e32 v[12:13], v[44:45], v[4:5]
	v_fma_f64 v[14:15], v[44:45], v[6:7], -v[0:1]
	v_accvgpr_read_b32 v4, a164
	v_accvgpr_read_b32 v6, a166
	;; [unrolled: 1-line block ×4, first 2 shown]
	s_waitcnt lgkmcnt(0)
	v_mul_f64 v[0:1], v[6:7], v[42:43]
	v_mul_f64 v[2:3], v[6:7], v[40:41]
	v_fmac_f64_e32 v[0:1], v[4:5], v[40:41]
	v_fma_f64 v[2:3], v[4:5], v[42:43], -v[2:3]
	ds_read_b128 v[40:43], v248 offset:26112
	ds_read_b128 v[112:115], v248
	ds_read_b128 v[108:111], v248 offset:816
	v_accvgpr_read_b32 v44, a160
	v_accvgpr_read_b32 v46, a162
	;; [unrolled: 1-line block ×4, first 2 shown]
	s_waitcnt lgkmcnt(2)
	v_mul_f64 v[4:5], v[46:47], v[42:43]
	v_fmac_f64_e32 v[4:5], v[44:45], v[40:41]
	v_mul_f64 v[6:7], v[46:47], v[40:41]
	s_waitcnt lgkmcnt(1)
	v_add_f64 v[40:41], v[112:113], v[200:201]
	v_add_f64 v[116:117], v[40:41], v[204:205]
	;; [unrolled: 1-line block ×5, first 2 shown]
	v_fmac_f64_e32 v[112:113], -0.5, v[40:41]
	v_add_f64 v[40:41], v[202:203], v[206:207]
	s_mov_b32 s0, 0xe8584caa
	v_fma_f64 v[6:7], v[44:45], v[42:43], -v[6:7]
	v_add_f64 v[44:45], v[202:203], -v[206:207]
	v_fmac_f64_e32 v[114:115], -0.5, v[40:41]
	v_add_f64 v[46:47], v[200:201], -v[204:205]
	s_mov_b32 s1, 0xbfebb67a
	s_mov_b32 s3, 0x3febb67a
	;; [unrolled: 1-line block ×3, first 2 shown]
	v_fma_f64 v[40:41], s[0:1], v[44:45], v[112:113]
	v_fma_f64 v[42:43], s[2:3], v[46:47], v[114:115]
	ds_read_b128 v[104:107], v248 offset:1632
	ds_read_b128 v[100:103], v248 offset:2448
	ds_read_b128 v[96:99], v248 offset:3264
	ds_read_b128 v[92:95], v248 offset:4080
	ds_read_b128 v[88:91], v248 offset:4896
	ds_read_b128 v[84:87], v248 offset:5712
	ds_read_b128 v[80:83], v248 offset:6528
	ds_read_b128 v[76:79], v248 offset:7344
	s_waitcnt lgkmcnt(0)
	; wave barrier
	s_waitcnt lgkmcnt(0)
	ds_write_b128 v161, v[40:43] offset:272
	v_add_f64 v[40:41], v[108:109], v[152:153]
	v_add_f64 v[42:43], v[110:111], v[154:155]
	v_fmac_f64_e32 v[112:113], s[2:3], v[44:45]
	v_fmac_f64_e32 v[114:115], s[0:1], v[46:47]
	v_add_f64 v[40:41], v[40:41], v[156:157]
	v_add_f64 v[42:43], v[42:43], v[158:159]
	v_accvgpr_read_b32 v48, a186
	ds_write_b128 v161, v[116:119]
	ds_write_b128 v161, v[112:115] offset:544
	ds_write_b128 v48, v[40:43]
	v_add_f64 v[40:41], v[152:153], v[156:157]
	v_fmac_f64_e32 v[108:109], -0.5, v[40:41]
	v_add_f64 v[40:41], v[154:155], v[158:159]
	v_add_f64 v[44:45], v[154:155], -v[158:159]
	v_fmac_f64_e32 v[110:111], -0.5, v[40:41]
	v_add_f64 v[46:47], v[152:153], -v[156:157]
	v_fma_f64 v[40:41], s[0:1], v[44:45], v[108:109]
	v_fma_f64 v[42:43], s[2:3], v[46:47], v[110:111]
	ds_write_b128 v48, v[40:43] offset:272
	v_fmac_f64_e32 v[108:109], s[2:3], v[44:45]
	v_fmac_f64_e32 v[110:111], s[0:1], v[46:47]
	v_add_f64 v[40:41], v[104:105], v[144:145]
	v_add_f64 v[42:43], v[106:107], v[146:147]
	ds_write_b128 v48, v[108:111] offset:544
	v_add_f64 v[40:41], v[40:41], v[148:149]
	v_add_f64 v[42:43], v[42:43], v[150:151]
	v_accvgpr_read_b32 v48, a185
	ds_write_b128 v48, v[40:43]
	v_add_f64 v[40:41], v[144:145], v[148:149]
	v_fmac_f64_e32 v[104:105], -0.5, v[40:41]
	v_add_f64 v[40:41], v[146:147], v[150:151]
	v_add_f64 v[44:45], v[146:147], -v[150:151]
	v_fmac_f64_e32 v[106:107], -0.5, v[40:41]
	v_add_f64 v[46:47], v[144:145], -v[148:149]
	v_fma_f64 v[40:41], s[0:1], v[44:45], v[104:105]
	v_fma_f64 v[42:43], s[2:3], v[46:47], v[106:107]
	ds_write_b128 v48, v[40:43] offset:272
	v_fmac_f64_e32 v[104:105], s[2:3], v[44:45]
	v_fmac_f64_e32 v[106:107], s[0:1], v[46:47]
	v_add_f64 v[40:41], v[100:101], v[136:137]
	v_add_f64 v[42:43], v[102:103], v[138:139]
	ds_write_b128 v48, v[104:107] offset:544
	v_add_f64 v[40:41], v[40:41], v[140:141]
	v_add_f64 v[42:43], v[42:43], v[142:143]
	v_accvgpr_read_b32 v48, a184
	ds_write_b128 v48, v[40:43]
	v_add_f64 v[40:41], v[136:137], v[140:141]
	v_fmac_f64_e32 v[100:101], -0.5, v[40:41]
	v_add_f64 v[40:41], v[138:139], v[142:143]
	v_add_f64 v[44:45], v[138:139], -v[142:143]
	v_fmac_f64_e32 v[102:103], -0.5, v[40:41]
	v_add_f64 v[46:47], v[136:137], -v[140:141]
	v_fma_f64 v[40:41], s[0:1], v[44:45], v[100:101]
	v_fma_f64 v[42:43], s[2:3], v[46:47], v[102:103]
	v_fmac_f64_e32 v[100:101], s[2:3], v[44:45]
	v_fmac_f64_e32 v[102:103], s[0:1], v[46:47]
	ds_write_b128 v48, v[40:43] offset:272
	ds_write_b128 v48, v[100:103] offset:544
	buffer_load_dword v48, off, s[64:67], 0 offset:12 ; 4-byte Folded Reload
	v_add_f64 v[40:41], v[96:97], v[128:129]
	v_add_f64 v[42:43], v[98:99], v[130:131]
	;; [unrolled: 1-line block ×4, first 2 shown]
	v_add_f64 v[44:45], v[130:131], -v[134:135]
	v_add_f64 v[46:47], v[128:129], -v[132:133]
	s_mov_b32 s16, 0xf8bb580b
	s_mov_b32 s20, 0x8eee2c13
	;; [unrolled: 1-line block ×30, first 2 shown]
	s_waitcnt vmcnt(0)
	ds_write_b128 v48, v[40:43]
	v_add_f64 v[40:41], v[128:129], v[132:133]
	v_fmac_f64_e32 v[96:97], -0.5, v[40:41]
	v_add_f64 v[40:41], v[130:131], v[134:135]
	v_fmac_f64_e32 v[98:99], -0.5, v[40:41]
	v_fma_f64 v[40:41], s[0:1], v[44:45], v[96:97]
	v_fma_f64 v[42:43], s[2:3], v[46:47], v[98:99]
	v_fmac_f64_e32 v[96:97], s[2:3], v[44:45]
	v_fmac_f64_e32 v[98:99], s[0:1], v[46:47]
	ds_write_b128 v48, v[40:43] offset:272
	ds_write_b128 v48, v[96:99] offset:544
	buffer_load_dword v48, off, s[64:67], 0 offset:8 ; 4-byte Folded Reload
	v_add_f64 v[40:41], v[92:93], v[120:121]
	v_add_f64 v[42:43], v[94:95], v[122:123]
	v_add_f64 v[40:41], v[40:41], v[124:125]
	v_add_f64 v[42:43], v[42:43], v[126:127]
	v_add_f64 v[44:45], v[122:123], -v[126:127]
	v_add_f64 v[46:47], v[120:121], -v[124:125]
	s_waitcnt vmcnt(0)
	ds_write_b128 v48, v[40:43]
	v_add_f64 v[40:41], v[120:121], v[124:125]
	v_fmac_f64_e32 v[92:93], -0.5, v[40:41]
	v_add_f64 v[40:41], v[122:123], v[126:127]
	v_fmac_f64_e32 v[94:95], -0.5, v[40:41]
	v_fma_f64 v[40:41], s[0:1], v[44:45], v[92:93]
	v_fmac_f64_e32 v[92:93], s[2:3], v[44:45]
	buffer_load_dword v44, off, s[64:67], 0 offset:4 ; 4-byte Folded Reload
	v_fma_f64 v[42:43], s[2:3], v[46:47], v[94:95]
	ds_write_b128 v48, v[40:43] offset:272
	v_add_f64 v[40:41], v[88:89], v[32:33]
	v_add_f64 v[42:43], v[90:91], v[34:35]
	v_fmac_f64_e32 v[94:95], s[0:1], v[46:47]
	v_add_f64 v[40:41], v[40:41], v[36:37]
	v_add_f64 v[42:43], v[42:43], v[38:39]
	ds_write_b128 v48, v[92:95] offset:544
	s_waitcnt vmcnt(0)
	ds_write_b128 v44, v[40:43]
	v_add_f64 v[40:41], v[32:33], v[36:37]
	v_fmac_f64_e32 v[88:89], -0.5, v[40:41]
	v_add_f64 v[40:41], v[34:35], -v[38:39]
	v_add_f64 v[34:35], v[34:35], v[38:39]
	v_fmac_f64_e32 v[90:91], -0.5, v[34:35]
	v_add_f64 v[36:37], v[32:33], -v[36:37]
	v_fma_f64 v[34:35], s[2:3], v[36:37], v[90:91]
	v_fmac_f64_e32 v[90:91], s[0:1], v[36:37]
	buffer_load_dword v36, off, s[64:67], 0 ; 4-byte Folded Reload
	v_fma_f64 v[32:33], s[0:1], v[40:41], v[88:89]
	ds_write_b128 v44, v[32:35] offset:272
	v_add_f64 v[32:33], v[84:85], v[24:25]
	v_add_f64 v[34:35], v[86:87], v[26:27]
	v_fmac_f64_e32 v[88:89], s[2:3], v[40:41]
	v_add_f64 v[32:33], v[32:33], v[28:29]
	v_add_f64 v[34:35], v[34:35], v[30:31]
	ds_write_b128 v44, v[88:91] offset:544
	v_accvgpr_read_b32 v44, a176
	v_accvgpr_read_b32 v46, a178
	;; [unrolled: 1-line block ×4, first 2 shown]
	s_waitcnt vmcnt(0)
	ds_write_b128 v36, v[32:35]
	v_add_f64 v[32:33], v[24:25], v[28:29]
	v_fmac_f64_e32 v[84:85], -0.5, v[32:33]
	v_add_f64 v[32:33], v[26:27], -v[30:31]
	v_add_f64 v[26:27], v[26:27], v[30:31]
	v_fmac_f64_e32 v[86:87], -0.5, v[26:27]
	v_add_f64 v[28:29], v[24:25], -v[28:29]
	v_fma_f64 v[24:25], s[0:1], v[32:33], v[84:85]
	v_fma_f64 v[26:27], s[2:3], v[28:29], v[86:87]
	ds_write_b128 v36, v[24:27] offset:272
	v_add_f64 v[24:25], v[80:81], v[16:17]
	v_add_f64 v[26:27], v[82:83], v[18:19]
	v_fmac_f64_e32 v[84:85], s[2:3], v[32:33]
	v_fmac_f64_e32 v[86:87], s[0:1], v[28:29]
	v_add_f64 v[24:25], v[24:25], v[20:21]
	v_add_f64 v[26:27], v[26:27], v[22:23]
	ds_write_b128 v36, v[84:87] offset:544
	ds_write_b128 v175, v[24:27]
	v_add_f64 v[24:25], v[16:17], v[20:21]
	v_fmac_f64_e32 v[80:81], -0.5, v[24:25]
	v_add_f64 v[24:25], v[18:19], -v[22:23]
	v_add_f64 v[18:19], v[18:19], v[22:23]
	v_fmac_f64_e32 v[82:83], -0.5, v[18:19]
	v_add_f64 v[20:21], v[16:17], -v[20:21]
	v_fma_f64 v[16:17], s[0:1], v[24:25], v[80:81]
	v_fma_f64 v[18:19], s[2:3], v[20:21], v[82:83]
	ds_write_b128 v175, v[16:19] offset:272
	v_add_f64 v[16:17], v[76:77], v[8:9]
	v_add_f64 v[18:19], v[78:79], v[10:11]
	v_fmac_f64_e32 v[80:81], s[2:3], v[24:25]
	v_fmac_f64_e32 v[82:83], s[0:1], v[20:21]
	v_add_f64 v[16:17], v[16:17], v[12:13]
	v_add_f64 v[18:19], v[18:19], v[14:15]
	ds_write_b128 v175, v[80:83] offset:544
	ds_write_b128 v174, v[16:19]
	v_add_f64 v[16:17], v[8:9], v[12:13]
	v_fmac_f64_e32 v[76:77], -0.5, v[16:17]
	v_add_f64 v[16:17], v[10:11], -v[14:15]
	v_add_f64 v[10:11], v[10:11], v[14:15]
	v_fmac_f64_e32 v[78:79], -0.5, v[10:11]
	v_add_f64 v[12:13], v[8:9], -v[12:13]
	v_fma_f64 v[8:9], s[0:1], v[16:17], v[76:77]
	v_fma_f64 v[10:11], s[2:3], v[12:13], v[78:79]
	ds_write_b128 v174, v[8:11] offset:272
	v_add_f64 v[8:9], v[72:73], v[0:1]
	v_add_f64 v[10:11], v[74:75], v[2:3]
	v_fmac_f64_e32 v[76:77], s[2:3], v[16:17]
	v_fmac_f64_e32 v[78:79], s[0:1], v[12:13]
	v_add_f64 v[8:9], v[8:9], v[4:5]
	v_add_f64 v[10:11], v[10:11], v[6:7]
	v_accvgpr_read_b32 v12, a1
	ds_write_b128 v174, v[76:79] offset:544
	ds_write_b128 v12, v[8:11]
	v_add_f64 v[8:9], v[0:1], v[4:5]
	v_add_f64 v[10:11], v[2:3], -v[6:7]
	v_add_f64 v[2:3], v[2:3], v[6:7]
	v_fmac_f64_e32 v[72:73], -0.5, v[8:9]
	v_fmac_f64_e32 v[74:75], -0.5, v[2:3]
	v_add_f64 v[0:1], v[0:1], -v[4:5]
	v_fma_f64 v[8:9], s[0:1], v[10:11], v[72:73]
	v_fmac_f64_e32 v[72:73], s[2:3], v[10:11]
	v_fma_f64 v[10:11], s[2:3], v[0:1], v[74:75]
	v_fmac_f64_e32 v[74:75], s[0:1], v[0:1]
	ds_write_b128 v12, v[8:11] offset:272
	ds_write_b128 v12, v[72:75] offset:544
	s_waitcnt lgkmcnt(0)
	; wave barrier
	s_waitcnt lgkmcnt(0)
	ds_read_b128 v[76:79], v248 offset:2448
	ds_read_b128 v[72:75], v248 offset:1632
	s_waitcnt lgkmcnt(1)
	v_mul_f64 v[0:1], v[190:191], v[76:77]
	v_fma_f64 v[26:27], v[188:189], v[78:79], -v[0:1]
	ds_read_b128 v[0:3], v248 offset:3264
	ds_read_b128 v[34:37], v248 offset:4080
	v_mul_f64 v[24:25], v[190:191], v[78:79]
	v_fmac_f64_e32 v[24:25], v[188:189], v[76:77]
	s_waitcnt lgkmcnt(1)
	v_mul_f64 v[156:157], v[190:191], v[2:3]
	v_fmac_f64_e32 v[156:157], v[188:189], v[0:1]
	v_mul_f64 v[0:1], v[190:191], v[0:1]
	v_fma_f64 v[158:159], v[188:189], v[2:3], -v[0:1]
	ds_read_b128 v[0:3], v248 offset:4896
	ds_read_b128 v[4:7], v248 offset:5712
	s_waitcnt lgkmcnt(1)
	v_mul_f64 v[30:31], v[182:183], v[2:3]
	v_fmac_f64_e32 v[30:31], v[180:181], v[0:1]
	v_mul_f64 v[0:1], v[182:183], v[0:1]
	v_fma_f64 v[32:33], v[180:181], v[2:3], -v[0:1]
	s_waitcnt lgkmcnt(0)
	v_mul_f64 v[0:1], v[182:183], v[4:5]
	v_fma_f64 v[150:151], v[180:181], v[6:7], -v[0:1]
	ds_read_b128 v[0:3], v248 offset:7344
	ds_read_b128 v[40:43], v248 offset:6528
	v_mul_f64 v[148:149], v[182:183], v[6:7]
	v_fmac_f64_e32 v[148:149], v[180:181], v[4:5]
	s_waitcnt lgkmcnt(1)
	v_mul_f64 v[20:21], v[178:179], v[2:3]
	v_fmac_f64_e32 v[20:21], v[176:177], v[0:1]
	v_mul_f64 v[0:1], v[178:179], v[0:1]
	v_fma_f64 v[22:23], v[176:177], v[2:3], -v[0:1]
	ds_read_b128 v[0:3], v248 offset:8160
	ds_read_b128 v[76:79], v248 offset:8976
	s_waitcnt lgkmcnt(1)
	v_mul_f64 v[144:145], v[178:179], v[2:3]
	v_fmac_f64_e32 v[144:145], v[176:177], v[0:1]
	v_mul_f64 v[0:1], v[178:179], v[0:1]
	v_fma_f64 v[146:147], v[176:177], v[2:3], -v[0:1]
	ds_read_b128 v[0:3], v248 offset:9792
	ds_read_b128 v[4:7], v248 offset:10608
	s_waitcnt lgkmcnt(1)
	v_mul_f64 v[12:13], v[172:173], v[2:3]
	v_fmac_f64_e32 v[12:13], v[170:171], v[0:1]
	v_mul_f64 v[0:1], v[172:173], v[0:1]
	v_fma_f64 v[14:15], v[170:171], v[2:3], -v[0:1]
	s_waitcnt lgkmcnt(0)
	v_mul_f64 v[0:1], v[172:173], v[4:5]
	v_fma_f64 v[138:139], v[170:171], v[6:7], -v[0:1]
	ds_read_b128 v[0:3], v248 offset:12240
	ds_read_b128 v[86:89], v248 offset:11424
	v_mul_f64 v[136:137], v[172:173], v[6:7]
	v_fmac_f64_e32 v[136:137], v[170:171], v[4:5]
	s_waitcnt lgkmcnt(1)
	v_mul_f64 v[4:5], v[194:195], v[2:3]
	v_fmac_f64_e32 v[4:5], v[192:193], v[0:1]
	v_mul_f64 v[0:1], v[194:195], v[0:1]
	v_fma_f64 v[6:7], v[192:193], v[2:3], -v[0:1]
	ds_read_b128 v[0:3], v248 offset:13056
	ds_read_b128 v[90:93], v248 offset:13872
	s_waitcnt lgkmcnt(1)
	v_mul_f64 v[128:129], v[194:195], v[2:3]
	v_fmac_f64_e32 v[128:129], v[192:193], v[0:1]
	v_mul_f64 v[0:1], v[194:195], v[0:1]
	v_fma_f64 v[130:131], v[192:193], v[2:3], -v[0:1]
	ds_read_b128 v[0:3], v248 offset:14688
	ds_read_b128 v[16:19], v248 offset:15504
	s_waitcnt lgkmcnt(1)
	v_mul_f64 v[8:9], v[46:47], v[2:3]
	v_fmac_f64_e32 v[8:9], v[44:45], v[0:1]
	v_mul_f64 v[0:1], v[46:47], v[0:1]
	v_fma_f64 v[10:11], v[44:45], v[2:3], -v[0:1]
	s_waitcnt lgkmcnt(0)
	v_mul_f64 v[0:1], v[46:47], v[16:17]
	v_fma_f64 v[134:135], v[44:45], v[18:19], -v[0:1]
	ds_read_b128 v[0:3], v248 offset:17136
	ds_read_b128 v[94:97], v248 offset:16320
	v_mul_f64 v[132:133], v[46:47], v[18:19]
	v_fmac_f64_e32 v[132:133], v[44:45], v[16:17]
	v_accvgpr_read_b32 v46, a200
	s_waitcnt lgkmcnt(1)
	v_mul_f64 v[16:17], v[168:169], v[2:3]
	v_fmac_f64_e32 v[16:17], v[166:167], v[0:1]
	v_mul_f64 v[0:1], v[168:169], v[0:1]
	v_fma_f64 v[18:19], v[166:167], v[2:3], -v[0:1]
	ds_read_b128 v[0:3], v248 offset:17952
	ds_read_b128 v[98:101], v248 offset:18768
	v_accvgpr_read_b32 v48, a202
	v_accvgpr_read_b32 v49, a203
	;; [unrolled: 1-line block ×3, first 2 shown]
	s_waitcnt lgkmcnt(1)
	v_mul_f64 v[140:141], v[168:169], v[2:3]
	v_fmac_f64_e32 v[140:141], v[166:167], v[0:1]
	v_mul_f64 v[0:1], v[168:169], v[0:1]
	v_fma_f64 v[142:143], v[166:167], v[2:3], -v[0:1]
	ds_read_b128 v[0:3], v248 offset:19584
	ds_read_b128 v[102:105], v248 offset:20400
	v_mul_f64 v[200:201], v[48:49], v[36:37]
	v_fmac_f64_e32 v[200:201], v[46:47], v[34:35]
	v_mul_f64 v[34:35], v[48:49], v[34:35]
	s_waitcnt lgkmcnt(1)
	v_mul_f64 v[80:81], v[164:165], v[2:3]
	v_fmac_f64_e32 v[80:81], v[162:163], v[0:1]
	v_mul_f64 v[0:1], v[164:165], v[0:1]
	v_fma_f64 v[82:83], v[162:163], v[2:3], -v[0:1]
	s_waitcnt lgkmcnt(0)
	v_mul_f64 v[152:153], v[164:165], v[104:105]
	v_mul_f64 v[0:1], v[164:165], v[102:103]
	v_fmac_f64_e32 v[152:153], v[162:163], v[102:103]
	v_fma_f64 v[154:155], v[162:163], v[104:105], -v[0:1]
	ds_read_b128 v[0:3], v248 offset:22032
	ds_read_b128 v[102:105], v248 offset:21216
	v_fma_f64 v[202:203], v[46:47], v[36:37], -v[34:35]
	v_accvgpr_read_b32 v46, a196
	v_accvgpr_read_b32 v48, a198
	s_waitcnt lgkmcnt(1)
	v_mul_f64 v[38:39], v[198:199], v[2:3]
	v_fmac_f64_e32 v[38:39], v[196:197], v[0:1]
	v_mul_f64 v[0:1], v[198:199], v[0:1]
	v_fma_f64 v[84:85], v[196:197], v[2:3], -v[0:1]
	ds_read_b128 v[0:3], v248 offset:22848
	ds_read_b128 v[106:109], v248 offset:23664
	v_accvgpr_read_b32 v49, a199
	v_accvgpr_read_b32 v47, a197
	v_mul_f64 v[192:193], v[48:49], v[42:43]
	s_waitcnt lgkmcnt(1)
	v_mul_f64 v[160:161], v[198:199], v[2:3]
	v_fmac_f64_e32 v[160:161], v[196:197], v[0:1]
	v_mul_f64 v[0:1], v[198:199], v[0:1]
	v_fma_f64 v[162:163], v[196:197], v[2:3], -v[0:1]
	ds_read_b128 v[0:3], v248 offset:24480
	ds_read_b128 v[110:113], v248 offset:25296
	v_mul_f64 v[34:35], v[48:49], v[40:41]
	v_fmac_f64_e32 v[192:193], v[46:47], v[40:41]
	v_fma_f64 v[194:195], v[46:47], v[42:43], -v[34:35]
	s_waitcnt lgkmcnt(1)
	v_mul_f64 v[28:29], v[186:187], v[2:3]
	v_fmac_f64_e32 v[28:29], v[184:185], v[0:1]
	v_mul_f64 v[0:1], v[186:187], v[0:1]
	v_accvgpr_read_b32 v40, a192
	v_fma_f64 v[44:45], v[184:185], v[2:3], -v[0:1]
	s_waitcnt lgkmcnt(0)
	v_mul_f64 v[0:1], v[186:187], v[112:113]
	v_mul_f64 v[2:3], v[186:187], v[110:111]
	v_accvgpr_read_b32 v42, a194
	v_accvgpr_read_b32 v43, a195
	v_fmac_f64_e32 v[0:1], v[184:185], v[110:111]
	v_fma_f64 v[2:3], v[184:185], v[112:113], -v[2:3]
	v_accvgpr_read_b32 v41, a193
	v_mul_f64 v[184:185], v[42:43], v[78:79]
	v_mul_f64 v[34:35], v[42:43], v[76:77]
	v_fmac_f64_e32 v[184:185], v[40:41], v[76:77]
	v_fma_f64 v[186:187], v[40:41], v[78:79], -v[34:35]
	v_accvgpr_read_b32 v40, a188
	v_accvgpr_read_b32 v42, a190
	v_accvgpr_read_b32 v43, a191
	v_accvgpr_read_b32 v41, a189
	v_mul_f64 v[176:177], v[42:43], v[88:89]
	v_mul_f64 v[34:35], v[42:43], v[86:87]
	v_fmac_f64_e32 v[176:177], v[40:41], v[86:87]
	v_fma_f64 v[178:179], v[40:41], v[88:89], -v[34:35]
	v_accvgpr_read_b32 v40, a216
	v_accvgpr_read_b32 v42, a218
	v_accvgpr_read_b32 v43, a219
	;; [unrolled: 8-line block ×6, first 2 shown]
	v_accvgpr_read_b32 v41, a225
	v_mul_f64 v[34:35], v[42:43], v[106:107]
	v_fma_f64 v[198:199], v[40:41], v[108:109], -v[34:35]
	ds_read_b128 v[34:37], v248 offset:26112
	v_mul_f64 v[196:197], v[42:43], v[108:109]
	v_fmac_f64_e32 v[196:197], v[40:41], v[106:107]
	v_accvgpr_read_b32 v40, a220
	v_accvgpr_read_b32 v42, a222
	;; [unrolled: 1-line block ×4, first 2 shown]
	s_waitcnt lgkmcnt(0)
	v_mul_f64 v[204:205], v[42:43], v[36:37]
	v_fmac_f64_e32 v[204:205], v[40:41], v[34:35]
	v_mul_f64 v[34:35], v[42:43], v[34:35]
	v_fma_f64 v[206:207], v[40:41], v[36:37], -v[34:35]
	ds_read_b128 v[40:43], v248
	ds_read_b128 v[124:127], v248 offset:816
	v_add_f64 v[112:113], v[22:23], v[82:83]
	v_add_f64 v[116:117], v[20:21], v[80:81]
	;; [unrolled: 1-line block ×3, first 2 shown]
	s_waitcnt lgkmcnt(1)
	v_add_f64 v[34:35], v[40:41], v[24:25]
	v_add_f64 v[34:35], v[34:35], v[30:31]
	;; [unrolled: 1-line block ×20, first 2 shown]
	v_add_f64 v[24:25], v[24:25], -v[28:29]
	v_add_f64 v[28:29], v[26:27], v[44:45]
	v_add_f64 v[26:27], v[26:27], -v[44:45]
	v_add_f64 v[78:79], v[36:37], v[44:45]
	v_mul_f64 v[36:37], v[26:27], s[16:17]
	v_mul_f64 v[46:47], v[26:27], s[20:21]
	;; [unrolled: 1-line block ×5, first 2 shown]
	v_fma_f64 v[44:45], s[4:5], v[34:35], v[36:37]
	v_fma_f64 v[36:37], v[34:35], s[4:5], -v[36:37]
	v_fma_f64 v[48:49], s[12:13], v[34:35], v[46:47]
	v_fma_f64 v[46:47], v[34:35], s[12:13], -v[46:47]
	v_fma_f64 v[52:53], s[22:23], v[34:35], v[50:51]
	v_fma_f64 v[50:51], v[34:35], s[22:23], -v[50:51]
	v_fma_f64 v[56:57], s[26:27], v[34:35], v[54:55]
	v_fma_f64 v[54:55], v[34:35], s[26:27], -v[54:55]
	v_fma_f64 v[58:59], s[38:39], v[34:35], v[26:27]
	v_fma_f64 v[26:27], v[34:35], s[38:39], -v[26:27]
	v_mul_f64 v[34:35], v[28:29], s[4:5]
	v_mul_f64 v[62:63], v[28:29], s[12:13]
	;; [unrolled: 1-line block ×5, first 2 shown]
	v_fma_f64 v[92:93], s[42:43], v[24:25], v[28:29]
	v_fmac_f64_e32 v[28:29], s[36:37], v[24:25]
	v_fma_f64 v[60:61], s[30:31], v[24:25], v[34:35]
	v_fmac_f64_e32 v[34:35], s[16:17], v[24:25]
	;; [unrolled: 2-line block ×5, first 2 shown]
	v_add_f64 v[24:25], v[42:43], v[28:29]
	v_add_f64 v[28:29], v[30:31], v[38:39]
	v_add_f64 v[30:31], v[30:31], -v[38:39]
	v_add_f64 v[38:39], v[32:33], v[84:85]
	v_add_f64 v[32:33], v[32:33], -v[84:85]
	v_add_f64 v[44:45], v[40:41], v[44:45]
	v_add_f64 v[94:95], v[40:41], v[36:37]
	;; [unrolled: 1-line block ×10, first 2 shown]
	v_mul_f64 v[40:41], v[32:33], s[20:21]
	v_add_f64 v[22:23], v[22:23], -v[82:83]
	v_add_f64 v[60:61], v[42:43], v[60:61]
	v_add_f64 v[114:115], v[42:43], v[34:35]
	v_add_f64 v[64:65], v[42:43], v[64:65]
	v_add_f64 v[88:89], v[42:43], v[62:63]
	v_add_f64 v[100:101], v[42:43], v[68:69]
	v_add_f64 v[96:97], v[42:43], v[66:67]
	v_add_f64 v[104:105], v[42:43], v[86:87]
	v_add_f64 v[108:109], v[42:43], v[70:71]
	v_add_f64 v[34:35], v[42:43], v[92:93]
	v_fma_f64 v[42:43], s[12:13], v[28:29], v[40:41]
	v_mul_f64 v[50:51], v[22:23], s[18:19]
	v_add_f64 v[42:43], v[42:43], v[44:45]
	v_mul_f64 v[44:45], v[38:39], s[12:13]
	v_fma_f64 v[52:53], s[22:23], v[116:117], v[50:51]
	v_fma_f64 v[46:47], s[28:29], v[30:31], v[44:45]
	v_add_f64 v[20:21], v[20:21], -v[80:81]
	v_add_f64 v[42:43], v[52:53], v[42:43]
	v_mul_f64 v[52:53], v[112:113], s[22:23]
	v_add_f64 v[12:13], v[12:13], -v[16:17]
	v_add_f64 v[16:17], v[14:15], v[18:19]
	v_add_f64 v[14:15], v[14:15], -v[18:19]
	v_add_f64 v[46:47], v[46:47], v[60:61]
	v_fma_f64 v[54:55], s[34:35], v[20:21], v[52:53]
	v_mul_f64 v[18:19], v[14:15], s[24:25]
	v_add_f64 v[46:47], v[54:55], v[46:47]
	v_fma_f64 v[54:55], s[26:27], v[118:119], v[18:19]
	v_add_f64 v[42:43], v[54:55], v[42:43]
	v_mul_f64 v[54:55], v[16:17], s[26:27]
	v_fma_f64 v[56:57], s[40:41], v[12:13], v[54:55]
	v_add_f64 v[46:47], v[56:57], v[46:47]
	v_add_f64 v[56:57], v[4:5], v[8:9]
	v_add_f64 v[4:5], v[4:5], -v[8:9]
	v_add_f64 v[8:9], v[6:7], v[10:11]
	v_add_f64 v[6:7], v[6:7], -v[10:11]
	v_mul_f64 v[10:11], v[6:7], s[36:37]
	v_fma_f64 v[58:59], s[38:39], v[56:57], v[10:11]
	v_add_f64 v[84:85], v[58:59], v[42:43]
	v_mul_f64 v[42:43], v[8:9], s[38:39]
	v_fma_f64 v[58:59], s[42:43], v[4:5], v[42:43]
	v_fma_f64 v[40:41], v[28:29], s[12:13], -v[40:41]
	v_add_f64 v[86:87], v[58:59], v[46:47]
	v_add_f64 v[40:41], v[40:41], v[94:95]
	v_fma_f64 v[46:47], v[116:117], s[22:23], -v[50:51]
	v_fmac_f64_e32 v[44:45], s[20:21], v[30:31]
	v_add_f64 v[40:41], v[46:47], v[40:41]
	v_fma_f64 v[18:19], v[118:119], s[26:27], -v[18:19]
	v_add_f64 v[44:45], v[44:45], v[114:115]
	v_fmac_f64_e32 v[52:53], s[18:19], v[20:21]
	v_add_f64 v[18:19], v[18:19], v[40:41]
	v_fma_f64 v[10:11], v[56:57], s[38:39], -v[10:11]
	v_add_f64 v[44:45], v[52:53], v[44:45]
	v_fmac_f64_e32 v[54:55], s[24:25], v[12:13]
	v_add_f64 v[80:81], v[10:11], v[18:19]
	v_mul_f64 v[10:11], v[32:33], s[24:25]
	v_add_f64 v[40:41], v[54:55], v[44:45]
	v_fmac_f64_e32 v[42:43], s[36:37], v[4:5]
	v_fma_f64 v[18:19], s[26:27], v[28:29], v[10:11]
	v_mul_f64 v[44:45], v[22:23], s[42:43]
	v_add_f64 v[82:83], v[42:43], v[40:41]
	v_add_f64 v[18:19], v[18:19], v[48:49]
	v_mul_f64 v[40:41], v[38:39], s[26:27]
	v_fma_f64 v[46:47], s[38:39], v[116:117], v[44:45]
	v_fma_f64 v[42:43], s[40:41], v[30:31], v[40:41]
	v_add_f64 v[18:19], v[46:47], v[18:19]
	v_mul_f64 v[46:47], v[112:113], s[38:39]
	v_add_f64 v[42:43], v[42:43], v[64:65]
	v_fma_f64 v[48:49], s[36:37], v[20:21], v[46:47]
	v_add_f64 v[42:43], v[48:49], v[42:43]
	v_mul_f64 v[48:49], v[14:15], s[34:35]
	v_fma_f64 v[50:51], s[22:23], v[118:119], v[48:49]
	v_add_f64 v[18:19], v[50:51], v[18:19]
	v_mul_f64 v[50:51], v[16:17], s[22:23]
	v_fma_f64 v[52:53], s[18:19], v[12:13], v[50:51]
	v_add_f64 v[42:43], v[52:53], v[42:43]
	v_mul_f64 v[52:53], v[6:7], s[30:31]
	v_fma_f64 v[54:55], s[4:5], v[56:57], v[52:53]
	v_add_f64 v[92:93], v[54:55], v[18:19]
	v_mul_f64 v[18:19], v[8:9], s[4:5]
	v_fma_f64 v[54:55], s[16:17], v[4:5], v[18:19]
	v_fma_f64 v[10:11], v[28:29], s[26:27], -v[10:11]
	v_add_f64 v[94:95], v[54:55], v[42:43]
	v_add_f64 v[10:11], v[10:11], v[90:91]
	v_fmac_f64_e32 v[40:41], s[24:25], v[30:31]
	v_fma_f64 v[42:43], v[116:117], s[38:39], -v[44:45]
	v_add_f64 v[40:41], v[40:41], v[88:89]
	v_add_f64 v[10:11], v[42:43], v[10:11]
	v_fmac_f64_e32 v[46:47], s[42:43], v[20:21]
	v_fma_f64 v[42:43], v[118:119], s[22:23], -v[48:49]
	v_add_f64 v[40:41], v[46:47], v[40:41]
	v_add_f64 v[10:11], v[42:43], v[10:11]
	v_fmac_f64_e32 v[50:51], s[34:35], v[12:13]
	v_fma_f64 v[42:43], v[56:57], s[4:5], -v[52:53]
	v_add_f64 v[40:41], v[50:51], v[40:41]
	v_add_f64 v[88:89], v[42:43], v[10:11]
	v_fmac_f64_e32 v[18:19], s[30:31], v[4:5]
	v_mul_f64 v[10:11], v[32:33], s[42:43]
	v_add_f64 v[90:91], v[18:19], v[40:41]
	v_fma_f64 v[18:19], s[38:39], v[28:29], v[10:11]
	v_mul_f64 v[44:45], v[22:23], s[28:29]
	v_add_f64 v[18:19], v[18:19], v[102:103]
	v_mul_f64 v[40:41], v[38:39], s[38:39]
	v_fma_f64 v[46:47], s[12:13], v[116:117], v[44:45]
	v_fma_f64 v[42:43], s[36:37], v[30:31], v[40:41]
	v_add_f64 v[18:19], v[46:47], v[18:19]
	v_mul_f64 v[46:47], v[112:113], s[12:13]
	v_add_f64 v[42:43], v[42:43], v[100:101]
	v_fma_f64 v[48:49], s[20:21], v[20:21], v[46:47]
	v_add_f64 v[42:43], v[48:49], v[42:43]
	v_mul_f64 v[48:49], v[14:15], s[16:17]
	v_fma_f64 v[50:51], s[4:5], v[118:119], v[48:49]
	v_add_f64 v[18:19], v[50:51], v[18:19]
	v_mul_f64 v[50:51], v[16:17], s[4:5]
	v_fma_f64 v[52:53], s[30:31], v[12:13], v[50:51]
	v_add_f64 v[42:43], v[52:53], v[42:43]
	v_mul_f64 v[52:53], v[6:7], s[24:25]
	v_fma_f64 v[54:55], s[26:27], v[56:57], v[52:53]
	v_add_f64 v[100:101], v[54:55], v[18:19]
	v_mul_f64 v[18:19], v[8:9], s[26:27]
	v_fma_f64 v[54:55], s[40:41], v[4:5], v[18:19]
	v_fma_f64 v[10:11], v[28:29], s[38:39], -v[10:11]
	v_add_f64 v[102:103], v[54:55], v[42:43]
	v_add_f64 v[10:11], v[10:11], v[98:99]
	v_fmac_f64_e32 v[40:41], s[42:43], v[30:31]
	v_fma_f64 v[42:43], v[116:117], s[12:13], -v[44:45]
	v_add_f64 v[40:41], v[40:41], v[96:97]
	v_add_f64 v[10:11], v[42:43], v[10:11]
	v_fmac_f64_e32 v[46:47], s[28:29], v[20:21]
	v_fma_f64 v[42:43], v[118:119], s[4:5], -v[48:49]
	v_add_f64 v[40:41], v[46:47], v[40:41]
	v_add_f64 v[10:11], v[42:43], v[10:11]
	v_fmac_f64_e32 v[50:51], s[16:17], v[12:13]
	v_fma_f64 v[42:43], v[56:57], s[26:27], -v[52:53]
	v_add_f64 v[40:41], v[50:51], v[40:41]
	v_add_f64 v[96:97], v[42:43], v[10:11]
	v_fmac_f64_e32 v[18:19], s[24:25], v[4:5]
	v_mul_f64 v[10:11], v[32:33], s[34:35]
	v_add_f64 v[98:99], v[18:19], v[40:41]
	v_fma_f64 v[18:19], s[22:23], v[28:29], v[10:11]
	v_mul_f64 v[44:45], v[22:23], s[16:17]
	;; [unrolled: 40-line block ×3, first 2 shown]
	v_add_f64 v[18:19], v[18:19], v[36:37]
	v_fma_f64 v[36:37], s[16:17], v[30:31], v[32:33]
	v_mul_f64 v[22:23], v[22:23], s[24:25]
	v_add_f64 v[34:35], v[36:37], v[34:35]
	v_fma_f64 v[36:37], s[26:27], v[116:117], v[22:23]
	v_add_f64 v[18:19], v[36:37], v[18:19]
	v_mul_f64 v[36:37], v[112:113], s[26:27]
	v_fma_f64 v[38:39], s[40:41], v[20:21], v[36:37]
	v_mul_f64 v[14:15], v[14:15], s[28:29]
	v_fma_f64 v[10:11], v[28:29], s[4:5], -v[10:11]
	v_add_f64 v[34:35], v[38:39], v[34:35]
	v_fma_f64 v[38:39], s[12:13], v[118:119], v[14:15]
	v_mul_f64 v[16:17], v[16:17], s[12:13]
	v_add_f64 v[10:11], v[10:11], v[26:27]
	v_fma_f64 v[22:23], v[116:117], s[26:27], -v[22:23]
	v_add_f64 v[18:19], v[38:39], v[18:19]
	v_fma_f64 v[38:39], s[20:21], v[12:13], v[16:17]
	v_mul_f64 v[6:7], v[6:7], s[18:19]
	v_add_f64 v[10:11], v[22:23], v[10:11]
	v_fma_f64 v[14:15], v[118:119], s[12:13], -v[14:15]
	v_add_f64 v[34:35], v[38:39], v[34:35]
	v_fma_f64 v[38:39], s[22:23], v[56:57], v[6:7]
	v_add_f64 v[10:11], v[14:15], v[10:11]
	v_fma_f64 v[6:7], v[56:57], s[22:23], -v[6:7]
	v_mul_f64 v[8:9], v[8:9], s[22:23]
	v_add_f64 v[120:121], v[6:7], v[10:11]
	s_waitcnt lgkmcnt(0)
	v_add_f64 v[6:7], v[126:127], v[158:159]
	v_add_f64 v[112:113], v[38:39], v[18:19]
	v_fma_f64 v[18:19], s[34:35], v[4:5], v[8:9]
	v_fmac_f64_e32 v[8:9], s[18:19], v[4:5]
	v_add_f64 v[4:5], v[124:125], v[156:157]
	v_add_f64 v[6:7], v[6:7], v[150:151]
	;; [unrolled: 1-line block ×10, first 2 shown]
	v_fmac_f64_e32 v[32:33], s[30:31], v[30:31]
	v_add_f64 v[4:5], v[4:5], v[132:133]
	v_add_f64 v[6:7], v[6:7], v[142:143]
	;; [unrolled: 1-line block ×4, first 2 shown]
	v_fmac_f64_e32 v[36:37], s[24:25], v[20:21]
	v_add_f64 v[4:5], v[4:5], v[140:141]
	v_add_f64 v[6:7], v[6:7], v[154:155]
	;; [unrolled: 1-line block ×3, first 2 shown]
	v_fmac_f64_e32 v[16:17], s[28:29], v[12:13]
	v_add_f64 v[4:5], v[4:5], v[152:153]
	v_add_f64 v[6:7], v[6:7], v[162:163]
	;; [unrolled: 1-line block ×6, first 2 shown]
	v_add_f64 v[2:3], v[158:159], -v[2:3]
	v_add_f64 v[122:123], v[8:9], v[12:13]
	v_add_f64 v[116:117], v[4:5], v[0:1]
	;; [unrolled: 1-line block ×3, first 2 shown]
	v_mul_f64 v[8:9], v[2:3], s[16:17]
	v_mul_f64 v[12:13], v[2:3], s[20:21]
	;; [unrolled: 1-line block ×5, first 2 shown]
	v_add_f64 v[0:1], v[156:157], -v[0:1]
	v_fma_f64 v[10:11], s[4:5], v[4:5], v[8:9]
	v_fma_f64 v[8:9], v[4:5], s[4:5], -v[8:9]
	v_fma_f64 v[14:15], s[12:13], v[4:5], v[12:13]
	v_fma_f64 v[12:13], v[4:5], s[12:13], -v[12:13]
	;; [unrolled: 2-line block ×5, first 2 shown]
	v_mul_f64 v[4:5], v[6:7], s[4:5]
	v_mul_f64 v[32:33], v[6:7], s[22:23]
	;; [unrolled: 1-line block ×3, first 2 shown]
	v_fma_f64 v[24:25], s[30:31], v[0:1], v[4:5]
	v_fmac_f64_e32 v[4:5], s[16:17], v[0:1]
	v_mul_f64 v[26:27], v[6:7], s[12:13]
	v_fma_f64 v[34:35], s[34:35], v[0:1], v[32:33]
	v_fma_f64 v[42:43], s[40:41], v[0:1], v[40:41]
	v_fmac_f64_e32 v[40:41], s[24:25], v[0:1]
	v_mul_f64 v[6:7], v[6:7], s[38:39]
	v_add_f64 v[54:55], v[124:125], v[14:15]
	v_add_f64 v[14:15], v[150:151], -v[162:163]
	v_fma_f64 v[44:45], s[42:43], v[0:1], v[6:7]
	v_fmac_f64_e32 v[6:7], s[36:37], v[0:1]
	v_add_f64 v[52:53], v[126:127], v[4:5]
	v_add_f64 v[158:159], v[124:125], v[12:13]
	;; [unrolled: 1-line block ×7, first 2 shown]
	v_mul_f64 v[40:41], v[14:15], s[20:21]
	v_fma_f64 v[30:31], s[28:29], v[0:1], v[26:27]
	v_fmac_f64_e32 v[26:27], s[20:21], v[0:1]
	v_fmac_f64_e32 v[32:33], s[18:19], v[0:1]
	v_add_f64 v[46:47], v[124:125], v[10:11]
	v_add_f64 v[50:51], v[124:125], v[8:9]
	;; [unrolled: 1-line block ×6, first 2 shown]
	v_add_f64 v[6:7], v[148:149], -v[160:161]
	v_fma_f64 v[20:21], s[12:13], v[4:5], v[40:41]
	v_mul_f64 v[44:45], v[12:13], s[12:13]
	v_add_f64 v[48:49], v[126:127], v[24:25]
	v_add_f64 v[56:57], v[126:127], v[30:31]
	;; [unrolled: 1-line block ×5, first 2 shown]
	v_fma_f64 v[20:21], s[28:29], v[6:7], v[44:45]
	v_add_f64 v[32:33], v[146:147], -v[154:155]
	v_add_f64 v[46:47], v[20:21], v[48:49]
	v_add_f64 v[20:21], v[144:145], v[152:153]
	v_mul_f64 v[48:49], v[32:33], s[18:19]
	v_add_f64 v[10:11], v[124:125], v[28:29]
	v_add_f64 v[28:29], v[146:147], v[154:155]
	v_fma_f64 v[58:59], s[22:23], v[20:21], v[48:49]
	v_add_f64 v[156:157], v[126:127], v[26:27]
	v_add_f64 v[26:27], v[124:125], v[22:23]
	v_add_f64 v[22:23], v[144:145], -v[152:153]
	v_add_f64 v[42:43], v[58:59], v[42:43]
	v_mul_f64 v[58:59], v[28:29], s[22:23]
	v_add_f64 v[62:63], v[138:139], -v[142:143]
	v_fma_f64 v[60:61], s[34:35], v[22:23], v[58:59]
	v_add_f64 v[160:161], v[136:137], v[140:141]
	v_mul_f64 v[64:65], v[62:63], s[24:25]
	v_add_f64 v[46:47], v[60:61], v[46:47]
	v_add_f64 v[60:61], v[138:139], v[142:143]
	v_fma_f64 v[66:67], s[26:27], v[160:161], v[64:65]
	v_add_f64 v[162:163], v[136:137], -v[140:141]
	v_add_f64 v[42:43], v[66:67], v[42:43]
	v_mul_f64 v[66:67], v[60:61], s[26:27]
	v_fma_f64 v[68:69], s[40:41], v[162:163], v[66:67]
	v_add_f64 v[166:167], v[130:131], -v[134:135]
	v_add_f64 v[2:3], v[124:125], v[2:3]
	v_add_f64 v[46:47], v[68:69], v[46:47]
	;; [unrolled: 1-line block ×3, first 2 shown]
	v_mul_f64 v[124:125], v[166:167], s[36:37]
	v_add_f64 v[164:165], v[130:131], v[134:135]
	v_fma_f64 v[126:127], s[38:39], v[68:69], v[124:125]
	v_add_f64 v[70:71], v[128:129], -v[132:133]
	v_add_f64 v[128:129], v[126:127], v[42:43]
	v_mul_f64 v[42:43], v[164:165], s[38:39]
	v_fma_f64 v[126:127], s[42:43], v[70:71], v[42:43]
	v_fma_f64 v[40:41], v[4:5], s[12:13], -v[40:41]
	v_add_f64 v[130:131], v[126:127], v[46:47]
	v_add_f64 v[40:41], v[40:41], v[50:51]
	v_fmac_f64_e32 v[44:45], s[20:21], v[6:7]
	v_fma_f64 v[46:47], v[20:21], s[22:23], -v[48:49]
	v_add_f64 v[44:45], v[44:45], v[52:53]
	v_add_f64 v[40:41], v[46:47], v[40:41]
	v_fmac_f64_e32 v[58:59], s[18:19], v[22:23]
	;; [unrolled: 4-line block ×4, first 2 shown]
	v_mul_f64 v[40:41], v[14:15], s[24:25]
	v_add_f64 v[126:127], v[42:43], v[44:45]
	v_fma_f64 v[42:43], s[26:27], v[4:5], v[40:41]
	v_mul_f64 v[48:49], v[32:33], s[42:43]
	v_add_f64 v[42:43], v[42:43], v[54:55]
	v_mul_f64 v[44:45], v[12:13], s[26:27]
	v_fma_f64 v[50:51], s[38:39], v[20:21], v[48:49]
	v_fma_f64 v[46:47], s[40:41], v[6:7], v[44:45]
	v_add_f64 v[42:43], v[50:51], v[42:43]
	v_mul_f64 v[50:51], v[28:29], s[38:39]
	v_add_f64 v[46:47], v[46:47], v[56:57]
	v_fma_f64 v[52:53], s[36:37], v[22:23], v[50:51]
	v_add_f64 v[46:47], v[52:53], v[46:47]
	v_mul_f64 v[52:53], v[62:63], s[34:35]
	v_fma_f64 v[54:55], s[22:23], v[160:161], v[52:53]
	v_add_f64 v[42:43], v[54:55], v[42:43]
	v_mul_f64 v[54:55], v[60:61], s[22:23]
	;; [unrolled: 3-line block ×4, first 2 shown]
	v_fma_f64 v[58:59], s[16:17], v[70:71], v[42:43]
	v_fma_f64 v[40:41], v[4:5], s[26:27], -v[40:41]
	v_add_f64 v[138:139], v[58:59], v[46:47]
	v_add_f64 v[40:41], v[40:41], v[158:159]
	v_fmac_f64_e32 v[44:45], s[24:25], v[6:7]
	v_fma_f64 v[46:47], v[20:21], s[38:39], -v[48:49]
	v_add_f64 v[44:45], v[44:45], v[156:157]
	v_add_f64 v[40:41], v[46:47], v[40:41]
	v_fmac_f64_e32 v[50:51], s[42:43], v[22:23]
	;; [unrolled: 4-line block ×4, first 2 shown]
	v_mul_f64 v[40:41], v[14:15], s[42:43]
	v_add_f64 v[134:135], v[42:43], v[44:45]
	v_fma_f64 v[42:43], s[38:39], v[4:5], v[40:41]
	v_add_f64 v[38:39], v[42:43], v[38:39]
	v_mul_f64 v[42:43], v[12:13], s[38:39]
	v_fma_f64 v[44:45], s[36:37], v[6:7], v[42:43]
	v_add_f64 v[36:37], v[44:45], v[36:37]
	v_mul_f64 v[44:45], v[32:33], s[28:29]
	;; [unrolled: 3-line block ×7, first 2 shown]
	v_fma_f64 v[54:55], s[40:41], v[70:71], v[38:39]
	v_fmac_f64_e32 v[42:43], s[42:43], v[6:7]
	v_add_f64 v[146:147], v[54:55], v[36:37]
	v_fma_f64 v[36:37], v[4:5], s[38:39], -v[40:41]
	v_add_f64 v[30:31], v[42:43], v[30:31]
	v_fmac_f64_e32 v[46:47], s[28:29], v[22:23]
	v_add_f64 v[34:35], v[36:37], v[34:35]
	v_fma_f64 v[36:37], v[20:21], s[12:13], -v[44:45]
	v_add_f64 v[30:31], v[46:47], v[30:31]
	;; [unrolled: 4-line block ×4, first 2 shown]
	v_mul_f64 v[30:31], v[14:15], s[34:35]
	v_add_f64 v[140:141], v[36:37], v[34:35]
	v_fma_f64 v[34:35], s[22:23], v[4:5], v[30:31]
	v_add_f64 v[26:27], v[34:35], v[26:27]
	v_mul_f64 v[34:35], v[12:13], s[22:23]
	v_fma_f64 v[36:37], s[18:19], v[6:7], v[34:35]
	v_add_f64 v[24:25], v[36:37], v[24:25]
	v_mul_f64 v[36:37], v[32:33], s[16:17]
	;; [unrolled: 3-line block ×6, first 2 shown]
	v_fma_f64 v[46:47], s[12:13], v[68:69], v[44:45]
	v_fmac_f64_e32 v[34:35], s[34:35], v[6:7]
	v_add_f64 v[148:149], v[46:47], v[26:27]
	v_mul_f64 v[26:27], v[164:165], s[12:13]
	v_add_f64 v[16:17], v[34:35], v[16:17]
	v_fmac_f64_e32 v[38:39], s[16:17], v[22:23]
	v_fma_f64 v[46:47], s[20:21], v[70:71], v[26:27]
	v_add_f64 v[16:17], v[38:39], v[16:17]
	v_fmac_f64_e32 v[42:43], s[36:37], v[162:163]
	v_add_f64 v[150:151], v[46:47], v[24:25]
	v_fma_f64 v[24:25], v[4:5], s[22:23], -v[30:31]
	v_add_f64 v[16:17], v[42:43], v[16:17]
	v_fmac_f64_e32 v[26:27], s[28:29], v[70:71]
	v_mul_f64 v[14:15], v[14:15], s[30:31]
	v_add_f64 v[18:19], v[24:25], v[18:19]
	v_fma_f64 v[24:25], v[20:21], s[4:5], -v[36:37]
	v_add_f64 v[154:155], v[26:27], v[16:17]
	v_fma_f64 v[16:17], s[4:5], v[4:5], v[14:15]
	v_mul_f64 v[12:13], v[12:13], s[4:5]
	v_add_f64 v[18:19], v[24:25], v[18:19]
	v_fma_f64 v[24:25], v[160:161], s[38:39], -v[40:41]
	v_add_f64 v[10:11], v[16:17], v[10:11]
	v_fma_f64 v[16:17], s[16:17], v[6:7], v[12:13]
	v_add_f64 v[18:19], v[24:25], v[18:19]
	v_fma_f64 v[24:25], v[68:69], s[12:13], -v[44:45]
	v_add_f64 v[8:9], v[16:17], v[8:9]
	v_mul_f64 v[16:17], v[32:33], s[24:25]
	v_add_f64 v[152:153], v[24:25], v[18:19]
	v_fma_f64 v[18:19], s[26:27], v[20:21], v[16:17]
	v_add_f64 v[10:11], v[18:19], v[10:11]
	v_mul_f64 v[18:19], v[28:29], s[26:27]
	v_fma_f64 v[24:25], s[40:41], v[22:23], v[18:19]
	v_add_f64 v[8:9], v[24:25], v[8:9]
	v_mul_f64 v[24:25], v[62:63], s[28:29]
	;; [unrolled: 3-line block ×4, first 2 shown]
	v_fmac_f64_e32 v[12:13], s[30:31], v[6:7]
	v_fma_f64 v[30:31], s[22:23], v[68:69], v[28:29]
	v_fma_f64 v[4:5], v[4:5], s[4:5], -v[14:15]
	v_add_f64 v[0:1], v[12:13], v[0:1]
	v_fmac_f64_e32 v[18:19], s[24:25], v[22:23]
	v_add_f64 v[156:157], v[30:31], v[10:11]
	v_mul_f64 v[10:11], v[164:165], s[22:23]
	v_add_f64 v[2:3], v[4:5], v[2:3]
	v_fma_f64 v[4:5], v[20:21], s[26:27], -v[16:17]
	v_add_f64 v[0:1], v[18:19], v[0:1]
	v_fmac_f64_e32 v[26:27], s[28:29], v[162:163]
	v_fma_f64 v[30:31], s[34:35], v[70:71], v[10:11]
	v_add_f64 v[2:3], v[4:5], v[2:3]
	v_fma_f64 v[4:5], v[160:161], s[12:13], -v[24:25]
	v_add_f64 v[0:1], v[26:27], v[0:1]
	v_fmac_f64_e32 v[10:11], s[18:19], v[70:71]
	v_add_f64 v[2:3], v[4:5], v[2:3]
	v_fma_f64 v[4:5], v[68:69], s[22:23], -v[28:29]
	v_add_f64 v[166:167], v[10:11], v[0:1]
	v_add_f64 v[0:1], v[72:73], v[200:201]
	;; [unrolled: 1-line block ×19, first 2 shown]
	v_add_f64 v[6:7], v[202:203], -v[206:207]
	v_add_f64 v[158:159], v[30:31], v[8:9]
	v_add_f64 v[2:3], v[2:3], v[198:199]
	v_add_f64 v[160:161], v[0:1], v[204:205]
	v_add_f64 v[0:1], v[200:201], v[204:205]
	v_add_f64 v[4:5], v[202:203], v[206:207]
	v_mul_f64 v[8:9], v[6:7], s[16:17]
	v_mul_f64 v[12:13], v[6:7], s[20:21]
	;; [unrolled: 1-line block ×5, first 2 shown]
	v_add_f64 v[162:163], v[2:3], v[206:207]
	v_add_f64 v[2:3], v[200:201], -v[204:205]
	v_fma_f64 v[10:11], s[4:5], v[0:1], v[8:9]
	v_fma_f64 v[8:9], v[0:1], s[4:5], -v[8:9]
	v_fma_f64 v[14:15], s[12:13], v[0:1], v[12:13]
	v_fma_f64 v[12:13], v[0:1], s[12:13], -v[12:13]
	;; [unrolled: 2-line block ×5, first 2 shown]
	v_mul_f64 v[6:7], v[4:5], s[4:5]
	v_mul_f64 v[26:27], v[4:5], s[12:13]
	;; [unrolled: 1-line block ×5, first 2 shown]
	v_fma_f64 v[34:35], s[34:35], v[2:3], v[32:33]
	v_fma_f64 v[42:43], s[40:41], v[2:3], v[40:41]
	v_fmac_f64_e32 v[40:41], s[24:25], v[2:3]
	v_fma_f64 v[44:45], s[42:43], v[2:3], v[4:5]
	v_fmac_f64_e32 v[4:5], s[36:37], v[2:3]
	v_add_f64 v[54:55], v[72:73], v[14:15]
	v_add_f64 v[14:15], v[194:195], -v[198:199]
	v_fma_f64 v[24:25], s[30:31], v[2:3], v[6:7]
	v_fmac_f64_e32 v[6:7], s[16:17], v[2:3]
	v_fma_f64 v[30:31], s[28:29], v[2:3], v[26:27]
	v_fmac_f64_e32 v[26:27], s[20:21], v[2:3]
	v_fmac_f64_e32 v[32:33], s[18:19], v[2:3]
	v_add_f64 v[202:203], v[72:73], v[12:13]
	v_add_f64 v[36:37], v[74:75], v[34:35]
	;; [unrolled: 1-line block ×8, first 2 shown]
	v_mul_f64 v[40:41], v[14:15], s[20:21]
	v_add_f64 v[46:47], v[72:73], v[10:11]
	v_add_f64 v[50:51], v[72:73], v[8:9]
	;; [unrolled: 1-line block ×6, first 2 shown]
	v_add_f64 v[6:7], v[192:193], -v[196:197]
	v_fma_f64 v[20:21], s[12:13], v[4:5], v[40:41]
	v_mul_f64 v[44:45], v[12:13], s[12:13]
	v_add_f64 v[48:49], v[74:75], v[24:25]
	v_add_f64 v[56:57], v[74:75], v[30:31]
	;; [unrolled: 1-line block ×5, first 2 shown]
	v_fma_f64 v[20:21], s[28:29], v[6:7], v[44:45]
	v_add_f64 v[32:33], v[186:187], -v[190:191]
	v_add_f64 v[46:47], v[20:21], v[48:49]
	v_add_f64 v[20:21], v[184:185], v[188:189]
	v_mul_f64 v[48:49], v[32:33], s[18:19]
	v_add_f64 v[10:11], v[72:73], v[28:29]
	v_add_f64 v[28:29], v[186:187], v[190:191]
	v_fma_f64 v[58:59], s[22:23], v[20:21], v[48:49]
	v_add_f64 v[200:201], v[74:75], v[26:27]
	v_add_f64 v[26:27], v[72:73], v[22:23]
	v_add_f64 v[22:23], v[184:185], -v[188:189]
	v_add_f64 v[42:43], v[58:59], v[42:43]
	v_mul_f64 v[58:59], v[28:29], s[22:23]
	v_add_f64 v[62:63], v[178:179], -v[182:183]
	v_fma_f64 v[60:61], s[34:35], v[22:23], v[58:59]
	v_add_f64 v[188:189], v[176:177], v[180:181]
	v_mul_f64 v[64:65], v[62:63], s[24:25]
	v_add_f64 v[46:47], v[60:61], v[46:47]
	v_add_f64 v[60:61], v[178:179], v[182:183]
	v_fma_f64 v[66:67], s[26:27], v[188:189], v[64:65]
	v_add_f64 v[190:191], v[176:177], -v[180:181]
	v_add_f64 v[42:43], v[66:67], v[42:43]
	v_mul_f64 v[66:67], v[60:61], s[26:27]
	v_fma_f64 v[68:69], s[40:41], v[190:191], v[66:67]
	v_add_f64 v[194:195], v[170:171], -v[174:175]
	v_add_f64 v[46:47], v[68:69], v[46:47]
	v_add_f64 v[68:69], v[168:169], v[172:173]
	v_mul_f64 v[72:73], v[194:195], s[36:37]
	v_add_f64 v[192:193], v[170:171], v[174:175]
	v_fma_f64 v[74:75], s[38:39], v[68:69], v[72:73]
	v_add_f64 v[70:71], v[168:169], -v[172:173]
	v_add_f64 v[168:169], v[74:75], v[42:43]
	v_mul_f64 v[42:43], v[192:193], s[38:39]
	v_fma_f64 v[74:75], s[42:43], v[70:71], v[42:43]
	v_fma_f64 v[40:41], v[4:5], s[12:13], -v[40:41]
	v_add_f64 v[170:171], v[74:75], v[46:47]
	v_add_f64 v[40:41], v[40:41], v[50:51]
	v_fmac_f64_e32 v[44:45], s[20:21], v[6:7]
	v_fma_f64 v[46:47], v[20:21], s[22:23], -v[48:49]
	v_add_f64 v[44:45], v[44:45], v[52:53]
	v_add_f64 v[40:41], v[46:47], v[40:41]
	v_fmac_f64_e32 v[58:59], s[18:19], v[22:23]
	;; [unrolled: 4-line block ×4, first 2 shown]
	v_mul_f64 v[40:41], v[14:15], s[24:25]
	v_add_f64 v[74:75], v[42:43], v[44:45]
	v_fma_f64 v[42:43], s[26:27], v[4:5], v[40:41]
	v_mul_f64 v[48:49], v[32:33], s[42:43]
	v_add_f64 v[42:43], v[42:43], v[54:55]
	v_mul_f64 v[44:45], v[12:13], s[26:27]
	v_fma_f64 v[50:51], s[38:39], v[20:21], v[48:49]
	v_fma_f64 v[46:47], s[40:41], v[6:7], v[44:45]
	v_add_f64 v[42:43], v[50:51], v[42:43]
	v_mul_f64 v[50:51], v[28:29], s[38:39]
	v_add_f64 v[46:47], v[46:47], v[56:57]
	v_fma_f64 v[52:53], s[36:37], v[22:23], v[50:51]
	v_add_f64 v[46:47], v[52:53], v[46:47]
	v_mul_f64 v[52:53], v[62:63], s[34:35]
	v_fma_f64 v[54:55], s[22:23], v[188:189], v[52:53]
	v_add_f64 v[42:43], v[54:55], v[42:43]
	v_mul_f64 v[54:55], v[60:61], s[22:23]
	;; [unrolled: 3-line block ×4, first 2 shown]
	v_fma_f64 v[58:59], s[16:17], v[70:71], v[42:43]
	v_fma_f64 v[40:41], v[4:5], s[26:27], -v[40:41]
	v_add_f64 v[178:179], v[58:59], v[46:47]
	v_add_f64 v[40:41], v[40:41], v[202:203]
	v_fmac_f64_e32 v[44:45], s[24:25], v[6:7]
	v_fma_f64 v[46:47], v[20:21], s[38:39], -v[48:49]
	v_add_f64 v[44:45], v[44:45], v[200:201]
	v_add_f64 v[40:41], v[46:47], v[40:41]
	v_fmac_f64_e32 v[50:51], s[42:43], v[22:23]
	;; [unrolled: 4-line block ×4, first 2 shown]
	v_mul_f64 v[40:41], v[14:15], s[42:43]
	v_add_f64 v[174:175], v[42:43], v[44:45]
	v_fma_f64 v[42:43], s[38:39], v[4:5], v[40:41]
	v_add_f64 v[38:39], v[42:43], v[38:39]
	v_mul_f64 v[42:43], v[12:13], s[38:39]
	v_fma_f64 v[44:45], s[36:37], v[6:7], v[42:43]
	v_add_f64 v[36:37], v[44:45], v[36:37]
	v_mul_f64 v[44:45], v[32:33], s[28:29]
	;; [unrolled: 3-line block ×7, first 2 shown]
	v_fma_f64 v[54:55], s[40:41], v[70:71], v[38:39]
	v_fmac_f64_e32 v[42:43], s[42:43], v[6:7]
	v_add_f64 v[186:187], v[54:55], v[36:37]
	v_fma_f64 v[36:37], v[4:5], s[38:39], -v[40:41]
	v_add_f64 v[30:31], v[42:43], v[30:31]
	v_fmac_f64_e32 v[46:47], s[28:29], v[22:23]
	v_add_f64 v[34:35], v[36:37], v[34:35]
	v_fma_f64 v[36:37], v[20:21], s[12:13], -v[44:45]
	v_add_f64 v[30:31], v[46:47], v[30:31]
	;; [unrolled: 4-line block ×4, first 2 shown]
	v_mul_f64 v[30:31], v[14:15], s[34:35]
	v_add_f64 v[180:181], v[36:37], v[34:35]
	v_fma_f64 v[34:35], s[22:23], v[4:5], v[30:31]
	v_add_f64 v[26:27], v[34:35], v[26:27]
	v_mul_f64 v[34:35], v[12:13], s[22:23]
	v_fma_f64 v[36:37], s[18:19], v[6:7], v[34:35]
	v_add_f64 v[24:25], v[36:37], v[24:25]
	v_mul_f64 v[36:37], v[32:33], s[16:17]
	;; [unrolled: 3-line block ×5, first 2 shown]
	v_fma_f64 v[30:31], v[4:5], s[22:23], -v[30:31]
	v_fmac_f64_e32 v[34:35], s[34:35], v[6:7]
	v_fma_f64 v[44:45], s[42:43], v[190:191], v[42:43]
	v_mul_f64 v[46:47], v[194:195], s[28:29]
	v_add_f64 v[18:19], v[30:31], v[18:19]
	v_add_f64 v[16:17], v[34:35], v[16:17]
	v_fma_f64 v[30:31], v[20:21], s[4:5], -v[36:37]
	v_fmac_f64_e32 v[38:39], s[16:17], v[22:23]
	v_add_f64 v[44:45], v[44:45], v[24:25]
	v_fma_f64 v[24:25], s[12:13], v[68:69], v[46:47]
	v_mul_f64 v[48:49], v[192:193], s[12:13]
	v_add_f64 v[18:19], v[30:31], v[18:19]
	v_add_f64 v[16:17], v[38:39], v[16:17]
	v_fma_f64 v[30:31], v[188:189], s[38:39], -v[40:41]
	v_fmac_f64_e32 v[42:43], s[36:37], v[190:191]
	v_add_f64 v[24:25], v[24:25], v[26:27]
	v_fma_f64 v[26:27], s[20:21], v[70:71], v[48:49]
	v_add_f64 v[18:19], v[30:31], v[18:19]
	v_add_f64 v[30:31], v[42:43], v[16:17]
	v_fma_f64 v[16:17], v[68:69], s[12:13], -v[46:47]
	v_fmac_f64_e32 v[48:49], s[28:29], v[70:71]
	v_mul_f64 v[14:15], v[14:15], s[30:31]
	v_add_f64 v[16:17], v[16:17], v[18:19]
	v_add_f64 v[18:19], v[48:49], v[30:31]
	v_fma_f64 v[30:31], s[4:5], v[4:5], v[14:15]
	v_mul_f64 v[12:13], v[12:13], s[4:5]
	v_add_f64 v[10:11], v[30:31], v[10:11]
	v_fma_f64 v[30:31], s[16:17], v[6:7], v[12:13]
	v_add_f64 v[8:9], v[30:31], v[8:9]
	v_mul_f64 v[30:31], v[32:33], s[24:25]
	v_fma_f64 v[32:33], s[26:27], v[20:21], v[30:31]
	v_mul_f64 v[28:29], v[28:29], s[26:27]
	v_add_f64 v[10:11], v[32:33], v[10:11]
	v_fma_f64 v[32:33], s[40:41], v[22:23], v[28:29]
	v_add_f64 v[8:9], v[32:33], v[8:9]
	v_mul_f64 v[32:33], v[62:63], s[28:29]
	v_fma_f64 v[34:35], s[12:13], v[188:189], v[32:33]
	v_add_f64 v[10:11], v[34:35], v[10:11]
	v_mul_f64 v[34:35], v[60:61], s[12:13]
	v_fma_f64 v[4:5], v[4:5], s[4:5], -v[14:15]
	v_fmac_f64_e32 v[12:13], s[30:31], v[6:7]
	v_fma_f64 v[36:37], s[20:21], v[190:191], v[34:35]
	v_mul_f64 v[38:39], v[194:195], s[18:19]
	v_add_f64 v[2:3], v[4:5], v[2:3]
	v_add_f64 v[0:1], v[12:13], v[0:1]
	v_fma_f64 v[4:5], v[20:21], s[26:27], -v[30:31]
	v_fmac_f64_e32 v[28:29], s[24:25], v[22:23]
	v_add_f64 v[36:37], v[36:37], v[8:9]
	v_fma_f64 v[8:9], s[22:23], v[68:69], v[38:39]
	v_mul_f64 v[40:41], v[192:193], s[22:23]
	v_add_f64 v[2:3], v[4:5], v[2:3]
	v_add_f64 v[0:1], v[28:29], v[0:1]
	v_fma_f64 v[4:5], v[188:189], s[12:13], -v[32:33]
	v_fmac_f64_e32 v[34:35], s[28:29], v[190:191]
	v_add_f64 v[8:9], v[8:9], v[10:11]
	v_fma_f64 v[10:11], s[34:35], v[70:71], v[40:41]
	v_add_f64 v[2:3], v[4:5], v[2:3]
	v_add_f64 v[4:5], v[34:35], v[0:1]
	v_fma_f64 v[0:1], v[68:69], s[22:23], -v[38:39]
	v_fmac_f64_e32 v[40:41], s[18:19], v[70:71]
	v_accvgpr_read_b32 v28, a232
	v_add_f64 v[26:27], v[26:27], v[44:45]
	v_add_f64 v[10:11], v[10:11], v[36:37]
	;; [unrolled: 1-line block ×4, first 2 shown]
	v_accvgpr_read_b32 v4, a187
	v_accvgpr_read_b32 v30, a234
	;; [unrolled: 1-line block ×3, first 2 shown]
	s_waitcnt lgkmcnt(0)
	; wave barrier
	ds_write_b128 v248, v[76:79]
	ds_write_b128 v248, v[84:87] offset:816
	ds_write_b128 v248, v[92:95] offset:1632
	;; [unrolled: 1-line block ×32, first 2 shown]
	s_waitcnt lgkmcnt(0)
	; wave barrier
	s_waitcnt lgkmcnt(0)
	ds_read_b128 v[100:103], v248 offset:8976
	ds_read_b128 v[72:75], v248
	ds_read_b128 v[76:79], v248 offset:816
	ds_read_b128 v[104:107], v248 offset:17952
	;; [unrolled: 1-line block ×18, first 2 shown]
	v_accvgpr_read_b32 v29, a233
	s_waitcnt lgkmcnt(14)
	v_mul_f64 v[44:45], v[30:31], v[102:103]
	v_mul_f64 v[4:5], v[30:31], v[100:101]
	v_accvgpr_read_b32 v59, a41
	v_fmac_f64_e32 v[44:45], v[28:29], v[100:101]
	v_fma_f64 v[46:47], v[28:29], v[102:103], -v[4:5]
	v_accvgpr_read_b32 v28, a228
	v_accvgpr_read_b32 v58, a40
	v_accvgpr_read_b32 v30, a230
	v_accvgpr_read_b32 v31, a231
	v_accvgpr_read_b32 v57, a39
	v_accvgpr_read_b32 v56, a38
	s_waitcnt lgkmcnt(7)
	v_mul_f64 v[144:145], v[58:59], v[10:11]
	v_accvgpr_read_b32 v29, a229
	v_mul_f64 v[48:49], v[30:31], v[106:107]
	v_mul_f64 v[4:5], v[30:31], v[104:105]
	v_fmac_f64_e32 v[144:145], v[56:57], v[8:9]
	v_mul_f64 v[8:9], v[58:59], v[8:9]
	v_fmac_f64_e32 v[48:49], v[28:29], v[104:105]
	v_fma_f64 v[50:51], v[28:29], v[106:107], -v[4:5]
	v_accvgpr_read_b32 v28, a240
	v_fma_f64 v[146:147], v[56:57], v[10:11], -v[8:9]
	v_accvgpr_read_b32 v59, a49
	v_accvgpr_read_b32 v30, a242
	;; [unrolled: 1-line block ×5, first 2 shown]
	v_mul_f64 v[52:53], v[30:31], v[114:115]
	v_mul_f64 v[4:5], v[30:31], v[112:113]
	v_accvgpr_read_b32 v57, a47
	v_accvgpr_read_b32 v56, a46
	s_waitcnt lgkmcnt(4)
	v_mul_f64 v[148:149], v[58:59], v[14:15]
	v_mul_f64 v[8:9], v[58:59], v[12:13]
	v_fmac_f64_e32 v[52:53], v[28:29], v[112:113]
	v_fma_f64 v[54:55], v[28:29], v[114:115], -v[4:5]
	v_accvgpr_read_b32 v28, a236
	v_fmac_f64_e32 v[148:149], v[56:57], v[12:13]
	v_fma_f64 v[150:151], v[56:57], v[14:15], -v[8:9]
	v_accvgpr_read_b32 v56, a58
	v_accvgpr_read_b32 v30, a238
	;; [unrolled: 1-line block ×7, first 2 shown]
	v_mul_f64 v[4:5], v[30:31], v[108:109]
	v_accvgpr_read_b32 v38, a246
	v_accvgpr_read_b32 v39, a247
	;; [unrolled: 1-line block ×3, first 2 shown]
	s_waitcnt lgkmcnt(2)
	v_mul_f64 v[152:153], v[58:59], v[22:23]
	v_fma_f64 v[66:67], v[28:29], v[110:111], -v[4:5]
	v_accvgpr_read_b32 v37, a245
	v_mul_f64 v[68:69], v[38:39], v[118:119]
	v_mul_f64 v[4:5], v[38:39], v[116:117]
	v_fmac_f64_e32 v[152:153], v[56:57], v[20:21]
	v_mul_f64 v[20:21], v[58:59], v[20:21]
	v_fmac_f64_e32 v[68:69], v[36:37], v[116:117]
	v_fma_f64 v[70:71], v[36:37], v[118:119], -v[4:5]
	v_accvgpr_read_b32 v36, a248
	v_fma_f64 v[154:155], v[56:57], v[22:23], -v[20:21]
	v_accvgpr_read_b32 v59, a57
	v_mul_f64 v[64:65], v[30:31], v[110:111]
	v_accvgpr_read_b32 v38, a250
	v_accvgpr_read_b32 v39, a251
	;; [unrolled: 1-line block ×3, first 2 shown]
	ds_read_b128 v[104:107], v248 offset:4896
	ds_read_b128 v[100:103], v248 offset:5712
	v_fmac_f64_e32 v[64:65], v[28:29], v[108:109]
	ds_read_b128 v[28:31], v248 offset:22848
	ds_read_b128 v[32:35], v248 offset:23664
	v_accvgpr_read_b32 v37, a249
	v_mul_f64 v[4:5], v[38:39], v[120:121]
	v_accvgpr_read_b32 v57, a55
	v_accvgpr_read_b32 v56, a54
	s_waitcnt lgkmcnt(5)
	v_mul_f64 v[160:161], v[58:59], v[26:27]
	v_fma_f64 v[134:135], v[36:37], v[122:123], -v[4:5]
	v_accvgpr_read_b32 v4, a180
	v_fmac_f64_e32 v[160:161], v[56:57], v[24:25]
	v_mul_f64 v[24:25], v[58:59], v[24:25]
	v_accvgpr_read_b32 v6, a182
	v_accvgpr_read_b32 v7, a183
	v_fma_f64 v[162:163], v[56:57], v[26:27], -v[24:25]
	v_accvgpr_read_b32 v59, a25
	v_mul_f64 v[132:133], v[38:39], v[122:123]
	v_accvgpr_read_b32 v5, a181
	v_mul_f64 v[136:137], v[6:7], v[2:3]
	v_accvgpr_read_b32 v58, a24
	v_fmac_f64_e32 v[132:133], v[36:37], v[120:121]
	ds_read_b128 v[36:39], v248 offset:14688
	ds_read_b128 v[40:43], v248 offset:15504
	v_fmac_f64_e32 v[136:137], v[4:5], v[0:1]
	v_mul_f64 v[0:1], v[6:7], v[0:1]
	v_accvgpr_read_b32 v57, a23
	v_accvgpr_read_b32 v56, a22
	s_waitcnt lgkmcnt(3)
	v_mul_f64 v[164:165], v[58:59], v[30:31]
	v_fma_f64 v[138:139], v[4:5], v[2:3], -v[0:1]
	v_accvgpr_read_b32 v2, a252
	v_fmac_f64_e32 v[164:165], v[56:57], v[28:29]
	v_mul_f64 v[28:29], v[58:59], v[28:29]
	v_accvgpr_read_b32 v4, a254
	v_accvgpr_read_b32 v5, a255
	v_fma_f64 v[166:167], v[56:57], v[30:31], -v[28:29]
	v_accvgpr_read_b32 v59, a37
	v_accvgpr_read_b32 v3, a253
	v_mul_f64 v[140:141], v[4:5], v[126:127]
	v_accvgpr_read_b32 v58, a36
	v_fmac_f64_e32 v[140:141], v[2:3], v[124:125]
	v_mul_f64 v[0:1], v[4:5], v[124:125]
	v_accvgpr_read_b32 v57, a35
	v_accvgpr_read_b32 v56, a34
	s_waitcnt lgkmcnt(1)
	v_mul_f64 v[124:125], v[58:59], v[38:39]
	v_mul_f64 v[28:29], v[58:59], v[36:37]
	v_fmac_f64_e32 v[124:125], v[56:57], v[36:37]
	v_fma_f64 v[128:129], v[56:57], v[38:39], -v[28:29]
	v_accvgpr_read_b32 v39, a21
	v_accvgpr_read_b32 v38, a20
	v_fma_f64 v[142:143], v[2:3], v[126:127], -v[0:1]
	v_accvgpr_read_b32 v37, a19
	v_accvgpr_read_b32 v36, a18
	v_mul_f64 v[126:127], v[38:39], v[34:35]
	v_fmac_f64_e32 v[126:127], v[36:37], v[32:33]
	v_mul_f64 v[28:29], v[38:39], v[32:33]
	v_accvgpr_read_b32 v33, a17
	ds_read_b128 v[4:7], v248 offset:6528
	ds_read_b128 v[0:3], v248 offset:7344
	;; [unrolled: 1-line block ×4, first 2 shown]
	v_accvgpr_read_b32 v20, a30
	v_accvgpr_read_b32 v32, a16
	;; [unrolled: 1-line block ×4, first 2 shown]
	v_fma_f64 v[130:131], v[36:37], v[34:35], -v[28:29]
	v_accvgpr_read_b32 v31, a15
	v_accvgpr_read_b32 v30, a14
	s_waitcnt lgkmcnt(4)
	v_mul_f64 v[116:117], v[32:33], v[42:43]
	v_mul_f64 v[28:29], v[32:33], v[40:41]
	v_accvgpr_read_b32 v21, a31
	v_mul_f64 v[156:157], v[22:23], v[18:19]
	v_fmac_f64_e32 v[116:117], v[30:31], v[40:41]
	v_fma_f64 v[120:121], v[30:31], v[42:43], -v[28:29]
	v_accvgpr_read_b32 v28, a50
	v_fmac_f64_e32 v[156:157], v[20:21], v[16:17]
	v_mul_f64 v[16:17], v[22:23], v[16:17]
	v_accvgpr_read_b32 v30, a52
	v_accvgpr_read_b32 v31, a53
	v_fma_f64 v[158:159], v[20:21], v[18:19], -v[16:17]
	ds_read_b128 v[16:19], v248 offset:16320
	ds_read_b128 v[20:23], v248 offset:17136
	v_accvgpr_read_b32 v29, a51
	s_waitcnt lgkmcnt(3)
	v_mul_f64 v[118:119], v[30:31], v[10:11]
	v_fmac_f64_e32 v[118:119], v[28:29], v[8:9]
	v_mul_f64 v[8:9], v[30:31], v[8:9]
	v_fma_f64 v[122:123], v[28:29], v[10:11], -v[8:9]
	v_accvgpr_read_b32 v31, a29
	v_accvgpr_read_b32 v30, a28
	;; [unrolled: 1-line block ×4, first 2 shown]
	s_waitcnt lgkmcnt(1)
	v_mul_f64 v[108:109], v[30:31], v[18:19]
	v_mul_f64 v[8:9], v[30:31], v[16:17]
	v_fmac_f64_e32 v[108:109], v[28:29], v[16:17]
	v_fma_f64 v[112:113], v[28:29], v[18:19], -v[8:9]
	v_accvgpr_read_b32 v19, a13
	v_accvgpr_read_b32 v18, a12
	;; [unrolled: 1-line block ×4, first 2 shown]
	v_mul_f64 v[110:111], v[18:19], v[14:15]
	ds_read_b128 v[24:27], v248 offset:26112
	v_fmac_f64_e32 v[110:111], v[16:17], v[12:13]
	v_mul_f64 v[8:9], v[18:19], v[12:13]
	v_accvgpr_read_b32 v10, a62
	v_accvgpr_read_b32 v12, a64
	;; [unrolled: 1-line block ×3, first 2 shown]
	v_fma_f64 v[114:115], v[16:17], v[14:15], -v[8:9]
	v_accvgpr_read_b32 v11, a63
	s_waitcnt lgkmcnt(1)
	v_mul_f64 v[56:57], v[12:13], v[22:23]
	v_mul_f64 v[8:9], v[12:13], v[20:21]
	v_fmac_f64_e32 v[56:57], v[10:11], v[20:21]
	v_fma_f64 v[60:61], v[10:11], v[22:23], -v[8:9]
	v_accvgpr_read_b32 v10, a42
	v_accvgpr_read_b32 v12, a44
	;; [unrolled: 1-line block ×4, first 2 shown]
	s_waitcnt lgkmcnt(0)
	v_mul_f64 v[58:59], v[12:13], v[26:27]
	v_mul_f64 v[8:9], v[12:13], v[24:25]
	v_fmac_f64_e32 v[58:59], v[10:11], v[24:25]
	v_fma_f64 v[62:63], v[10:11], v[26:27], -v[8:9]
	v_add_f64 v[10:11], v[44:45], v[48:49]
	v_add_f64 v[8:9], v[72:73], v[44:45]
	v_fmac_f64_e32 v[72:73], -0.5, v[10:11]
	v_add_f64 v[10:11], v[46:47], -v[50:51]
	v_add_f64 v[14:15], v[46:47], v[50:51]
	v_fma_f64 v[12:13], s[0:1], v[10:11], v[72:73]
	v_fmac_f64_e32 v[72:73], s[2:3], v[10:11]
	v_add_f64 v[10:11], v[74:75], v[46:47]
	v_fmac_f64_e32 v[74:75], -0.5, v[14:15]
	v_add_f64 v[16:17], v[44:45], -v[48:49]
	v_add_f64 v[18:19], v[52:53], v[64:65]
	v_fma_f64 v[14:15], s[2:3], v[16:17], v[74:75]
	v_fmac_f64_e32 v[74:75], s[0:1], v[16:17]
	;; [unrolled: 6-line block ×8, first 2 shown]
	v_add_f64 v[40:41], v[92:93], v[144:145]
	v_fmac_f64_e32 v[92:93], -0.5, v[42:43]
	v_add_f64 v[42:43], v[146:147], -v[150:151]
	v_add_f64 v[46:47], v[146:147], v[150:151]
	v_add_f64 v[8:9], v[8:9], v[48:49]
	v_add_f64 v[10:11], v[10:11], v[50:51]
	v_fma_f64 v[44:45], s[0:1], v[42:43], v[92:93]
	v_fmac_f64_e32 v[92:93], s[2:3], v[42:43]
	v_add_f64 v[42:43], v[94:95], v[146:147]
	v_fmac_f64_e32 v[94:95], -0.5, v[46:47]
	v_add_f64 v[48:49], v[144:145], -v[148:149]
	v_add_f64 v[50:51], v[152:153], v[156:157]
	v_fma_f64 v[46:47], s[2:3], v[48:49], v[94:95]
	v_fmac_f64_e32 v[94:95], s[0:1], v[48:49]
	v_add_f64 v[48:49], v[96:97], v[152:153]
	v_fmac_f64_e32 v[96:97], -0.5, v[50:51]
	v_add_f64 v[50:51], v[154:155], -v[158:159]
	v_add_f64 v[54:55], v[154:155], v[158:159]
	v_add_f64 v[16:17], v[16:17], v[64:65]
	v_add_f64 v[18:19], v[18:19], v[66:67]
	v_fma_f64 v[52:53], s[0:1], v[50:51], v[96:97]
	v_fmac_f64_e32 v[96:97], s[2:3], v[50:51]
	v_add_f64 v[50:51], v[98:99], v[154:155]
	v_fmac_f64_e32 v[98:99], -0.5, v[54:55]
	v_add_f64 v[64:65], v[152:153], -v[156:157]
	v_add_f64 v[66:67], v[160:161], v[164:165]
	v_fma_f64 v[54:55], s[2:3], v[64:65], v[98:99]
	v_fmac_f64_e32 v[98:99], s[0:1], v[64:65]
	;; [unrolled: 14-line block ×3, first 2 shown]
	v_add_f64 v[132:133], v[100:101], v[124:125]
	v_fmac_f64_e32 v[100:101], -0.5, v[134:135]
	v_add_f64 v[134:135], v[128:129], -v[130:131]
	v_fma_f64 v[136:137], s[0:1], v[134:135], v[100:101]
	v_fmac_f64_e32 v[100:101], s[2:3], v[134:135]
	v_add_f64 v[134:135], v[102:103], v[128:129]
	v_add_f64 v[128:129], v[128:129], v[130:131]
	;; [unrolled: 1-line block ×3, first 2 shown]
	v_fmac_f64_e32 v[102:103], -0.5, v[128:129]
	v_add_f64 v[124:125], v[124:125], -v[126:127]
	v_add_f64 v[126:127], v[116:117], v[118:119]
	v_fma_f64 v[138:139], s[2:3], v[124:125], v[102:103]
	v_fmac_f64_e32 v[102:103], s[0:1], v[124:125]
	v_add_f64 v[124:125], v[4:5], v[116:117]
	v_fmac_f64_e32 v[4:5], -0.5, v[126:127]
	v_add_f64 v[126:127], v[120:121], -v[122:123]
	v_fma_f64 v[128:129], s[0:1], v[126:127], v[4:5]
	v_fmac_f64_e32 v[4:5], s[2:3], v[126:127]
	v_add_f64 v[126:127], v[6:7], v[120:121]
	v_add_f64 v[120:121], v[120:121], v[122:123]
	v_add_f64 v[124:125], v[124:125], v[118:119]
	v_fmac_f64_e32 v[6:7], -0.5, v[120:121]
	v_add_f64 v[116:117], v[116:117], -v[118:119]
	v_add_f64 v[118:119], v[108:109], v[110:111]
	v_add_f64 v[134:135], v[134:135], v[130:131]
	v_fma_f64 v[130:131], s[2:3], v[116:117], v[6:7]
	v_fmac_f64_e32 v[6:7], s[0:1], v[116:117]
	v_add_f64 v[116:117], v[0:1], v[108:109]
	v_fmac_f64_e32 v[0:1], -0.5, v[118:119]
	v_add_f64 v[118:119], v[112:113], -v[114:115]
	v_fma_f64 v[120:121], s[0:1], v[118:119], v[0:1]
	v_fmac_f64_e32 v[0:1], s[2:3], v[118:119]
	v_add_f64 v[118:119], v[2:3], v[112:113]
	v_add_f64 v[112:113], v[112:113], v[114:115]
	;; [unrolled: 1-line block ×3, first 2 shown]
	v_fmac_f64_e32 v[2:3], -0.5, v[112:113]
	v_add_f64 v[108:109], v[108:109], -v[110:111]
	v_add_f64 v[110:111], v[56:57], v[58:59]
	v_add_f64 v[126:127], v[126:127], v[122:123]
	v_fma_f64 v[122:123], s[2:3], v[108:109], v[2:3]
	v_fmac_f64_e32 v[2:3], s[0:1], v[108:109]
	v_add_f64 v[108:109], v[80:81], v[56:57]
	v_fmac_f64_e32 v[80:81], -0.5, v[110:111]
	v_add_f64 v[110:111], v[60:61], -v[62:63]
	v_fma_f64 v[112:113], s[0:1], v[110:111], v[80:81]
	v_fmac_f64_e32 v[80:81], s[2:3], v[110:111]
	v_add_f64 v[110:111], v[82:83], v[60:61]
	v_add_f64 v[60:61], v[60:61], v[62:63]
	v_fmac_f64_e32 v[82:83], -0.5, v[60:61]
	v_add_f64 v[56:57], v[56:57], -v[58:59]
	v_add_f64 v[32:33], v[32:33], v[140:141]
	v_add_f64 v[34:35], v[34:35], v[142:143]
	;; [unrolled: 1-line block ×11, first 2 shown]
	v_fma_f64 v[114:115], s[2:3], v[56:57], v[82:83]
	v_fmac_f64_e32 v[82:83], s[0:1], v[56:57]
	ds_write_b128 v248, v[8:11]
	ds_write_b128 v248, v[12:15] offset:8976
	ds_write_b128 v248, v[72:75] offset:17952
	;; [unrolled: 1-line block ×32, first 2 shown]
	s_waitcnt lgkmcnt(0)
	; wave barrier
	s_waitcnt lgkmcnt(0)
	ds_read_b128 v[0:3], v248
	v_accvgpr_read_b32 v192, a4
	v_mad_u64_u32 v[188:189], s[4:5], s10, v192, 0
	v_mov_b32_e32 v190, v189
	v_accvgpr_read_b32 v13, a9
	v_mad_u64_u32 v[4:5], s[0:1], s11, v192, v[190:191]
	v_accvgpr_read_b32 v12, a8
	v_mov_b32_e32 v189, v4
	ds_read_b128 v[4:7], v248 offset:1584
	v_accvgpr_read_b32 v11, a7
	v_accvgpr_read_b32 v10, a6
	s_waitcnt lgkmcnt(1)
	v_mul_f64 v[8:9], v[12:13], v[2:3]
	v_fmac_f64_e32 v[8:9], v[10:11], v[0:1]
	s_mov_b32 s2, 0x87d568ce
	v_mul_f64 v[0:1], v[12:13], v[0:1]
	s_mov_b32 s3, 0x3f437851
	v_fma_f64 v[0:1], v[10:11], v[2:3], -v[0:1]
	v_accvgpr_read_b32 v22, a0
	v_mul_f64 v[10:11], v[0:1], s[2:3]
	v_mad_u64_u32 v[0:1], s[0:1], s8, v22, 0
	v_mov_b32_e32 v2, v1
	v_mad_u64_u32 v[2:3], s[0:1], s9, v22, v[2:3]
	v_mov_b32_e32 v1, v2
	v_lshlrev_b64 v[2:3], 4, v[188:189]
	v_mov_b32_e32 v12, s15
	v_add_co_u32_e64 v2, s[0:1], s14, v2
	v_addc_co_u32_e64 v3, s[0:1], v12, v3, s[0:1]
	v_lshlrev_b64 v[0:1], 4, v[0:1]
	v_add_co_u32_e64 v0, s[0:1], v2, v0
	v_mul_f64 v[8:9], v[8:9], s[2:3]
	v_addc_co_u32_e64 v1, s[0:1], v3, v1, s[0:1]
	global_store_dwordx4 v[0:1], v[8:11], off
	s_mul_i32 s0, s9, 0x63
	v_accvgpr_read_b32 v10, a70
	v_accvgpr_read_b32 v12, a72
	;; [unrolled: 1-line block ×4, first 2 shown]
	s_waitcnt lgkmcnt(0)
	v_mul_f64 v[8:9], v[12:13], v[6:7]
	v_fmac_f64_e32 v[8:9], v[10:11], v[4:5]
	v_mul_f64 v[4:5], v[12:13], v[4:5]
	v_fma_f64 v[4:5], v[10:11], v[6:7], -v[4:5]
	v_mul_f64 v[10:11], v[4:5], s[2:3]
	s_mul_hi_u32 s1, s8, 0x63
	ds_read_b128 v[4:7], v248 offset:3168
	s_add_i32 s1, s1, s0
	s_mul_i32 s0, s8, 0x63
	s_lshl_b64 s[4:5], s[0:1], 4
	v_mov_b32_e32 v16, s5
	v_add_co_u32_e64 v0, s[0:1], s4, v0
	v_accvgpr_read_b32 v18, a66
	v_mul_f64 v[8:9], v[8:9], s[2:3]
	v_addc_co_u32_e64 v1, s[0:1], v1, v16, s[0:1]
	v_accvgpr_read_b32 v20, a68
	v_accvgpr_read_b32 v21, a69
	global_store_dwordx4 v[0:1], v[8:11], off
	ds_read_b128 v[8:11], v248 offset:4752
	v_accvgpr_read_b32 v19, a67
	s_waitcnt lgkmcnt(1)
	v_mul_f64 v[12:13], v[20:21], v[6:7]
	v_fmac_f64_e32 v[12:13], v[18:19], v[4:5]
	v_mul_f64 v[4:5], v[20:21], v[4:5]
	v_fma_f64 v[4:5], v[18:19], v[6:7], -v[4:5]
	v_add_co_u32_e64 v0, s[0:1], s4, v0
	v_mul_f64 v[12:13], v[12:13], s[2:3]
	v_mul_f64 v[14:15], v[4:5], s[2:3]
	v_addc_co_u32_e64 v1, s[0:1], v1, v16, s[0:1]
	global_store_dwordx4 v[0:1], v[12:15], off
	buffer_load_dword v12, off, s[64:67], 0 offset:224 ; 4-byte Folded Reload
	s_nop 0
	buffer_load_dword v13, off, s[64:67], 0 offset:228 ; 4-byte Folded Reload
	buffer_load_dword v14, off, s[64:67], 0 offset:232 ; 4-byte Folded Reload
	buffer_load_dword v15, off, s[64:67], 0 offset:236 ; 4-byte Folded Reload
	v_add_co_u32_e64 v0, s[0:1], s4, v0
	v_addc_co_u32_e64 v1, s[0:1], v1, v16, s[0:1]
	s_waitcnt vmcnt(0) lgkmcnt(0)
	v_mul_f64 v[4:5], v[14:15], v[10:11]
	v_mul_f64 v[6:7], v[14:15], v[8:9]
	v_fmac_f64_e32 v[4:5], v[12:13], v[8:9]
	v_fma_f64 v[6:7], v[12:13], v[10:11], -v[6:7]
	v_mul_f64 v[4:5], v[4:5], s[2:3]
	v_mul_f64 v[6:7], v[6:7], s[2:3]
	global_store_dwordx4 v[0:1], v[4:7], off
	ds_read_b128 v[8:11], v248 offset:6336
	ds_read_b128 v[4:7], v248 offset:7920
	buffer_load_dword v18, off, s[64:67], 0 offset:208 ; 4-byte Folded Reload
	buffer_load_dword v19, off, s[64:67], 0 offset:212 ; 4-byte Folded Reload
	buffer_load_dword v20, off, s[64:67], 0 offset:216 ; 4-byte Folded Reload
	buffer_load_dword v21, off, s[64:67], 0 offset:220 ; 4-byte Folded Reload
	v_add_co_u32_e64 v0, s[0:1], s4, v0
	v_addc_co_u32_e64 v1, s[0:1], v1, v16, s[0:1]
	s_waitcnt vmcnt(0) lgkmcnt(1)
	v_mul_f64 v[12:13], v[20:21], v[10:11]
	v_fmac_f64_e32 v[12:13], v[18:19], v[8:9]
	v_mul_f64 v[8:9], v[20:21], v[8:9]
	v_fma_f64 v[8:9], v[18:19], v[10:11], -v[8:9]
	v_mul_f64 v[12:13], v[12:13], s[2:3]
	v_mul_f64 v[14:15], v[8:9], s[2:3]
	global_store_dwordx4 v[0:1], v[12:15], off
	buffer_load_dword v10, off, s[64:67], 0 offset:192 ; 4-byte Folded Reload
	s_nop 0
	buffer_load_dword v11, off, s[64:67], 0 offset:196 ; 4-byte Folded Reload
	buffer_load_dword v12, off, s[64:67], 0 offset:200 ; 4-byte Folded Reload
	buffer_load_dword v13, off, s[64:67], 0 offset:204 ; 4-byte Folded Reload
	v_add_co_u32_e64 v0, s[0:1], s4, v0
	v_addc_co_u32_e64 v1, s[0:1], v1, v16, s[0:1]
	s_waitcnt vmcnt(0) lgkmcnt(0)
	v_mul_f64 v[8:9], v[12:13], v[6:7]
	v_fmac_f64_e32 v[8:9], v[10:11], v[4:5]
	v_mul_f64 v[4:5], v[12:13], v[4:5]
	v_fma_f64 v[4:5], v[10:11], v[6:7], -v[4:5]
	v_mul_f64 v[8:9], v[8:9], s[2:3]
	v_mul_f64 v[10:11], v[4:5], s[2:3]
	global_store_dwordx4 v[0:1], v[8:11], off
	ds_read_b128 v[4:7], v248 offset:9504
	ds_read_b128 v[8:11], v248 offset:11088
	buffer_load_dword v18, off, s[64:67], 0 offset:176 ; 4-byte Folded Reload
	buffer_load_dword v19, off, s[64:67], 0 offset:180 ; 4-byte Folded Reload
	buffer_load_dword v20, off, s[64:67], 0 offset:184 ; 4-byte Folded Reload
	buffer_load_dword v21, off, s[64:67], 0 offset:188 ; 4-byte Folded Reload
	v_add_co_u32_e64 v0, s[0:1], s4, v0
	v_addc_co_u32_e64 v1, s[0:1], v1, v16, s[0:1]
	s_waitcnt vmcnt(0) lgkmcnt(1)
	v_mul_f64 v[12:13], v[20:21], v[6:7]
	v_fmac_f64_e32 v[12:13], v[18:19], v[4:5]
	v_mul_f64 v[4:5], v[20:21], v[4:5]
	v_fma_f64 v[4:5], v[18:19], v[6:7], -v[4:5]
	v_mul_f64 v[12:13], v[12:13], s[2:3]
	v_mul_f64 v[14:15], v[4:5], s[2:3]
	global_store_dwordx4 v[0:1], v[12:15], off
	buffer_load_dword v12, off, s[64:67], 0 offset:160 ; 4-byte Folded Reload
	s_nop 0
	buffer_load_dword v13, off, s[64:67], 0 offset:164 ; 4-byte Folded Reload
	buffer_load_dword v14, off, s[64:67], 0 offset:168 ; 4-byte Folded Reload
	buffer_load_dword v15, off, s[64:67], 0 offset:172 ; 4-byte Folded Reload
	v_add_co_u32_e64 v0, s[0:1], s4, v0
	v_addc_co_u32_e64 v1, s[0:1], v1, v16, s[0:1]
	s_waitcnt vmcnt(0) lgkmcnt(0)
	v_mul_f64 v[4:5], v[14:15], v[10:11]
	v_mul_f64 v[6:7], v[14:15], v[8:9]
	v_fmac_f64_e32 v[4:5], v[12:13], v[8:9]
	v_fma_f64 v[6:7], v[12:13], v[10:11], -v[6:7]
	v_mul_f64 v[4:5], v[4:5], s[2:3]
	v_mul_f64 v[6:7], v[6:7], s[2:3]
	global_store_dwordx4 v[0:1], v[4:7], off
	ds_read_b128 v[8:11], v248 offset:12672
	ds_read_b128 v[4:7], v248 offset:14256
	buffer_load_dword v18, off, s[64:67], 0 offset:144 ; 4-byte Folded Reload
	buffer_load_dword v19, off, s[64:67], 0 offset:148 ; 4-byte Folded Reload
	buffer_load_dword v20, off, s[64:67], 0 offset:152 ; 4-byte Folded Reload
	buffer_load_dword v21, off, s[64:67], 0 offset:156 ; 4-byte Folded Reload
	v_add_co_u32_e64 v0, s[0:1], s4, v0
	v_addc_co_u32_e64 v1, s[0:1], v1, v16, s[0:1]
	s_waitcnt vmcnt(0) lgkmcnt(1)
	v_mul_f64 v[12:13], v[20:21], v[10:11]
	v_fmac_f64_e32 v[12:13], v[18:19], v[8:9]
	v_mul_f64 v[8:9], v[20:21], v[8:9]
	v_fma_f64 v[8:9], v[18:19], v[10:11], -v[8:9]
	v_mul_f64 v[12:13], v[12:13], s[2:3]
	v_mul_f64 v[14:15], v[8:9], s[2:3]
	global_store_dwordx4 v[0:1], v[12:15], off
	buffer_load_dword v10, off, s[64:67], 0 offset:128 ; 4-byte Folded Reload
	s_nop 0
	buffer_load_dword v11, off, s[64:67], 0 offset:132 ; 4-byte Folded Reload
	buffer_load_dword v12, off, s[64:67], 0 offset:136 ; 4-byte Folded Reload
	buffer_load_dword v13, off, s[64:67], 0 offset:140 ; 4-byte Folded Reload
	v_add_co_u32_e64 v0, s[0:1], s4, v0
	v_addc_co_u32_e64 v1, s[0:1], v1, v16, s[0:1]
	s_waitcnt vmcnt(0) lgkmcnt(0)
	v_mul_f64 v[8:9], v[12:13], v[6:7]
	v_fmac_f64_e32 v[8:9], v[10:11], v[4:5]
	v_mul_f64 v[4:5], v[12:13], v[4:5]
	v_fma_f64 v[4:5], v[10:11], v[6:7], -v[4:5]
	v_mul_f64 v[8:9], v[8:9], s[2:3]
	v_mul_f64 v[10:11], v[4:5], s[2:3]
	global_store_dwordx4 v[0:1], v[8:11], off
	ds_read_b128 v[4:7], v248 offset:15840
	ds_read_b128 v[8:11], v248 offset:17424
	buffer_load_dword v18, off, s[64:67], 0 offset:112 ; 4-byte Folded Reload
	buffer_load_dword v19, off, s[64:67], 0 offset:116 ; 4-byte Folded Reload
	buffer_load_dword v20, off, s[64:67], 0 offset:120 ; 4-byte Folded Reload
	buffer_load_dword v21, off, s[64:67], 0 offset:124 ; 4-byte Folded Reload
	v_add_co_u32_e64 v0, s[0:1], s4, v0
	v_addc_co_u32_e64 v1, s[0:1], v1, v16, s[0:1]
	s_waitcnt vmcnt(0) lgkmcnt(1)
	v_mul_f64 v[12:13], v[20:21], v[6:7]
	v_fmac_f64_e32 v[12:13], v[18:19], v[4:5]
	v_mul_f64 v[4:5], v[20:21], v[4:5]
	v_fma_f64 v[4:5], v[18:19], v[6:7], -v[4:5]
	v_mul_f64 v[12:13], v[12:13], s[2:3]
	v_mul_f64 v[14:15], v[4:5], s[2:3]
	;; [unrolled: 62-line block ×3, first 2 shown]
	global_store_dwordx4 v[0:1], v[12:15], off
	buffer_load_dword v12, off, s[64:67], 0 offset:32 ; 4-byte Folded Reload
	s_nop 0
	buffer_load_dword v13, off, s[64:67], 0 offset:36 ; 4-byte Folded Reload
	buffer_load_dword v14, off, s[64:67], 0 offset:40 ; 4-byte Folded Reload
	;; [unrolled: 1-line block ×3, first 2 shown]
	v_add_co_u32_e64 v0, s[0:1], s4, v0
	v_addc_co_u32_e64 v1, s[0:1], v1, v16, s[0:1]
	s_waitcnt vmcnt(0) lgkmcnt(0)
	v_mul_f64 v[4:5], v[14:15], v[10:11]
	v_mul_f64 v[6:7], v[14:15], v[8:9]
	v_fmac_f64_e32 v[4:5], v[12:13], v[8:9]
	v_fma_f64 v[6:7], v[12:13], v[10:11], -v[6:7]
	v_mul_f64 v[4:5], v[4:5], s[2:3]
	v_mul_f64 v[6:7], v[6:7], s[2:3]
	global_store_dwordx4 v[0:1], v[4:7], off
	ds_read_b128 v[8:11], v248 offset:25344
	buffer_load_dword v12, off, s[64:67], 0 offset:16 ; 4-byte Folded Reload
	buffer_load_dword v13, off, s[64:67], 0 offset:20 ; 4-byte Folded Reload
	;; [unrolled: 1-line block ×4, first 2 shown]
	v_add_co_u32_e64 v0, s[0:1], s4, v0
	v_addc_co_u32_e64 v1, s[0:1], v1, v16, s[0:1]
	s_waitcnt vmcnt(0) lgkmcnt(0)
	v_mul_f64 v[4:5], v[14:15], v[10:11]
	v_mul_f64 v[6:7], v[14:15], v[8:9]
	v_fmac_f64_e32 v[4:5], v[12:13], v[8:9]
	v_fma_f64 v[6:7], v[12:13], v[10:11], -v[6:7]
	v_mul_f64 v[4:5], v[4:5], s[2:3]
	v_mul_f64 v[6:7], v[6:7], s[2:3]
	global_store_dwordx4 v[0:1], v[4:7], off
	s_and_b64 exec, exec, vcc
	s_cbranch_execz .LBB0_15
; %bb.14:
	v_accvgpr_read_b32 v25, a3
	v_accvgpr_read_b32 v24, a2
	global_load_dwordx4 v[4:7], v[24:25], off offset:816
	ds_read_b128 v[8:11], v248 offset:816
	ds_read_b128 v[12:15], v248 offset:2400
	v_mov_b32_e32 v16, 0xffffa030
	s_mul_i32 s10, s9, 0xffffa030
	v_mad_u64_u32 v[16:17], s[0:1], s8, v16, v[0:1]
	s_sub_i32 s0, s10, s8
	v_add_u32_e32 v17, s0, v17
	s_movk_i32 s0, 0x1000
	s_waitcnt vmcnt(0) lgkmcnt(1)
	v_mul_f64 v[0:1], v[10:11], v[6:7]
	v_mul_f64 v[6:7], v[8:9], v[6:7]
	v_fmac_f64_e32 v[0:1], v[8:9], v[4:5]
	v_fma_f64 v[6:7], v[4:5], v[10:11], -v[6:7]
	v_mul_f64 v[4:5], v[0:1], s[2:3]
	v_mul_f64 v[6:7], v[6:7], s[2:3]
	global_store_dwordx4 v[16:17], v[4:7], off
	global_load_dwordx4 v[4:7], v[24:25], off offset:2400
	v_mov_b32_e32 v0, s5
	v_add_co_u32_e32 v16, vcc, s4, v16
	v_addc_co_u32_e32 v17, vcc, v17, v0, vcc
	v_add_co_u32_e32 v18, vcc, s0, v24
	v_addc_co_u32_e32 v19, vcc, 0, v25, vcc
	s_movk_i32 s0, 0x2000
	s_waitcnt vmcnt(0) lgkmcnt(0)
	v_mul_f64 v[8:9], v[14:15], v[6:7]
	v_mul_f64 v[6:7], v[12:13], v[6:7]
	v_fmac_f64_e32 v[8:9], v[12:13], v[4:5]
	v_fma_f64 v[6:7], v[4:5], v[14:15], -v[6:7]
	v_mul_f64 v[4:5], v[8:9], s[2:3]
	v_mul_f64 v[6:7], v[6:7], s[2:3]
	global_store_dwordx4 v[16:17], v[4:7], off
	global_load_dwordx4 v[4:7], v[24:25], off offset:3984
	ds_read_b128 v[8:11], v248 offset:3984
	ds_read_b128 v[12:15], v248 offset:5568
	v_add_co_u32_e32 v16, vcc, s4, v16
	v_addc_co_u32_e32 v17, vcc, v17, v0, vcc
	s_waitcnt vmcnt(0) lgkmcnt(1)
	v_mul_f64 v[20:21], v[10:11], v[6:7]
	v_mul_f64 v[6:7], v[8:9], v[6:7]
	v_fmac_f64_e32 v[20:21], v[8:9], v[4:5]
	v_fma_f64 v[6:7], v[4:5], v[10:11], -v[6:7]
	v_mul_f64 v[4:5], v[20:21], s[2:3]
	v_mul_f64 v[6:7], v[6:7], s[2:3]
	global_store_dwordx4 v[16:17], v[4:7], off
	global_load_dwordx4 v[4:7], v[18:19], off offset:1472
	v_add_co_u32_e32 v16, vcc, s4, v16
	v_addc_co_u32_e32 v17, vcc, v17, v0, vcc
	s_waitcnt vmcnt(0) lgkmcnt(0)
	v_mul_f64 v[8:9], v[14:15], v[6:7]
	v_mul_f64 v[6:7], v[12:13], v[6:7]
	v_fmac_f64_e32 v[8:9], v[12:13], v[4:5]
	v_fma_f64 v[6:7], v[4:5], v[14:15], -v[6:7]
	v_mul_f64 v[4:5], v[8:9], s[2:3]
	v_mul_f64 v[6:7], v[6:7], s[2:3]
	global_store_dwordx4 v[16:17], v[4:7], off
	global_load_dwordx4 v[4:7], v[18:19], off offset:3056
	ds_read_b128 v[8:11], v248 offset:7152
	ds_read_b128 v[12:15], v248 offset:8736
	v_add_co_u32_e32 v18, vcc, s0, v24
	v_addc_co_u32_e32 v19, vcc, 0, v25, vcc
	v_add_co_u32_e32 v16, vcc, s4, v16
	v_addc_co_u32_e32 v17, vcc, v17, v0, vcc
	s_movk_i32 s0, 0x3000
	s_waitcnt vmcnt(0) lgkmcnt(1)
	v_mul_f64 v[20:21], v[10:11], v[6:7]
	v_mul_f64 v[6:7], v[8:9], v[6:7]
	v_fmac_f64_e32 v[20:21], v[8:9], v[4:5]
	v_fma_f64 v[6:7], v[4:5], v[10:11], -v[6:7]
	v_mul_f64 v[4:5], v[20:21], s[2:3]
	v_mul_f64 v[6:7], v[6:7], s[2:3]
	global_store_dwordx4 v[16:17], v[4:7], off
	global_load_dwordx4 v[4:7], v[18:19], off offset:544
	v_add_co_u32_e32 v16, vcc, s4, v16
	v_addc_co_u32_e32 v17, vcc, v17, v0, vcc
	s_waitcnt vmcnt(0) lgkmcnt(0)
	v_mul_f64 v[8:9], v[14:15], v[6:7]
	v_mul_f64 v[6:7], v[12:13], v[6:7]
	v_fmac_f64_e32 v[8:9], v[12:13], v[4:5]
	v_fma_f64 v[6:7], v[4:5], v[14:15], -v[6:7]
	v_mul_f64 v[4:5], v[8:9], s[2:3]
	v_mul_f64 v[6:7], v[6:7], s[2:3]
	global_store_dwordx4 v[16:17], v[4:7], off
	global_load_dwordx4 v[4:7], v[18:19], off offset:2128
	ds_read_b128 v[8:11], v248 offset:10320
	ds_read_b128 v[12:15], v248 offset:11904
	v_add_co_u32_e32 v16, vcc, s4, v16
	v_addc_co_u32_e32 v17, vcc, v17, v0, vcc
	s_waitcnt vmcnt(0) lgkmcnt(1)
	v_mul_f64 v[20:21], v[10:11], v[6:7]
	v_mul_f64 v[6:7], v[8:9], v[6:7]
	v_fmac_f64_e32 v[20:21], v[8:9], v[4:5]
	v_fma_f64 v[6:7], v[4:5], v[10:11], -v[6:7]
	v_mul_f64 v[4:5], v[20:21], s[2:3]
	v_mul_f64 v[6:7], v[6:7], s[2:3]
	global_store_dwordx4 v[16:17], v[4:7], off
	global_load_dwordx4 v[4:7], v[18:19], off offset:3712
	v_add_co_u32_e32 v18, vcc, s0, v24
	v_addc_co_u32_e32 v19, vcc, 0, v25, vcc
	v_add_co_u32_e32 v16, vcc, s4, v16
	v_addc_co_u32_e32 v17, vcc, v17, v0, vcc
	s_movk_i32 s0, 0x4000
	s_waitcnt vmcnt(0) lgkmcnt(0)
	v_mul_f64 v[8:9], v[14:15], v[6:7]
	v_mul_f64 v[6:7], v[12:13], v[6:7]
	v_fmac_f64_e32 v[8:9], v[12:13], v[4:5]
	v_fma_f64 v[6:7], v[4:5], v[14:15], -v[6:7]
	v_mul_f64 v[4:5], v[8:9], s[2:3]
	v_mul_f64 v[6:7], v[6:7], s[2:3]
	global_store_dwordx4 v[16:17], v[4:7], off
	global_load_dwordx4 v[4:7], v[18:19], off offset:1200
	ds_read_b128 v[8:11], v248 offset:13488
	ds_read_b128 v[12:15], v248 offset:15072
	v_add_co_u32_e32 v16, vcc, s4, v16
	v_addc_co_u32_e32 v17, vcc, v17, v0, vcc
	s_waitcnt vmcnt(0) lgkmcnt(1)
	v_mul_f64 v[20:21], v[10:11], v[6:7]
	v_mul_f64 v[6:7], v[8:9], v[6:7]
	v_fmac_f64_e32 v[20:21], v[8:9], v[4:5]
	v_fma_f64 v[6:7], v[4:5], v[10:11], -v[6:7]
	v_mul_f64 v[4:5], v[20:21], s[2:3]
	v_mul_f64 v[6:7], v[6:7], s[2:3]
	global_store_dwordx4 v[16:17], v[4:7], off
	global_load_dwordx4 v[4:7], v[18:19], off offset:2784
	v_add_co_u32_e32 v18, vcc, s0, v24
	v_addc_co_u32_e32 v19, vcc, 0, v25, vcc
	v_add_co_u32_e32 v16, vcc, s4, v16
	v_addc_co_u32_e32 v17, vcc, v17, v0, vcc
	s_movk_i32 s0, 0x5000
	s_waitcnt vmcnt(0) lgkmcnt(0)
	v_mul_f64 v[8:9], v[14:15], v[6:7]
	v_mul_f64 v[6:7], v[12:13], v[6:7]
	v_fmac_f64_e32 v[8:9], v[12:13], v[4:5]
	v_fma_f64 v[6:7], v[4:5], v[14:15], -v[6:7]
	v_mul_f64 v[4:5], v[8:9], s[2:3]
	v_mul_f64 v[6:7], v[6:7], s[2:3]
	global_store_dwordx4 v[16:17], v[4:7], off
	global_load_dwordx4 v[4:7], v[18:19], off offset:272
	ds_read_b128 v[8:11], v248 offset:16656
	ds_read_b128 v[12:15], v248 offset:18240
	v_add_co_u32_e32 v16, vcc, s4, v16
	v_addc_co_u32_e32 v17, vcc, v17, v0, vcc
	s_waitcnt vmcnt(0) lgkmcnt(1)
	v_mul_f64 v[20:21], v[10:11], v[6:7]
	v_mul_f64 v[6:7], v[8:9], v[6:7]
	v_fmac_f64_e32 v[20:21], v[8:9], v[4:5]
	v_fma_f64 v[6:7], v[4:5], v[10:11], -v[6:7]
	v_mul_f64 v[4:5], v[20:21], s[2:3]
	v_mul_f64 v[6:7], v[6:7], s[2:3]
	global_store_dwordx4 v[16:17], v[4:7], off
	global_load_dwordx4 v[4:7], v[18:19], off offset:1856
	v_add_co_u32_e32 v16, vcc, s4, v16
	v_addc_co_u32_e32 v17, vcc, v17, v0, vcc
	s_waitcnt vmcnt(0) lgkmcnt(0)
	v_mul_f64 v[8:9], v[14:15], v[6:7]
	v_mul_f64 v[6:7], v[12:13], v[6:7]
	v_fmac_f64_e32 v[8:9], v[12:13], v[4:5]
	v_fma_f64 v[6:7], v[4:5], v[14:15], -v[6:7]
	v_mul_f64 v[4:5], v[8:9], s[2:3]
	v_mul_f64 v[6:7], v[6:7], s[2:3]
	global_store_dwordx4 v[16:17], v[4:7], off
	global_load_dwordx4 v[4:7], v[18:19], off offset:3440
	ds_read_b128 v[8:11], v248 offset:19824
	ds_read_b128 v[12:15], v248 offset:21408
	v_add_co_u32_e32 v18, vcc, s0, v24
	v_addc_co_u32_e32 v19, vcc, 0, v25, vcc
	v_add_co_u32_e32 v16, vcc, s4, v16
	v_addc_co_u32_e32 v17, vcc, v17, v0, vcc
	s_waitcnt vmcnt(0) lgkmcnt(1)
	v_mul_f64 v[20:21], v[10:11], v[6:7]
	v_mul_f64 v[6:7], v[8:9], v[6:7]
	v_fmac_f64_e32 v[20:21], v[8:9], v[4:5]
	v_fma_f64 v[6:7], v[4:5], v[10:11], -v[6:7]
	v_mul_f64 v[4:5], v[20:21], s[2:3]
	v_mul_f64 v[6:7], v[6:7], s[2:3]
	global_store_dwordx4 v[16:17], v[4:7], off
	global_load_dwordx4 v[4:7], v[18:19], off offset:928
	v_add_co_u32_e32 v16, vcc, s4, v16
	v_addc_co_u32_e32 v17, vcc, v17, v0, vcc
	s_waitcnt vmcnt(0) lgkmcnt(0)
	v_mul_f64 v[8:9], v[14:15], v[6:7]
	v_mul_f64 v[6:7], v[12:13], v[6:7]
	v_fmac_f64_e32 v[8:9], v[12:13], v[4:5]
	v_fma_f64 v[6:7], v[4:5], v[14:15], -v[6:7]
	v_mul_f64 v[4:5], v[8:9], s[2:3]
	v_mul_f64 v[6:7], v[6:7], s[2:3]
	global_store_dwordx4 v[16:17], v[4:7], off
	global_load_dwordx4 v[4:7], v[18:19], off offset:2512
	ds_read_b128 v[8:11], v248 offset:22992
	ds_read_b128 v[12:15], v248 offset:24576
	v_add_co_u32_e32 v16, vcc, s4, v16
	v_addc_co_u32_e32 v17, vcc, v17, v0, vcc
	v_or_b32_e32 v18, 0x600, v22
	v_lshlrev_b32_e32 v19, 4, v18
	s_movk_i32 s4, 0x6000
	s_waitcnt vmcnt(0) lgkmcnt(1)
	v_mul_f64 v[0:1], v[10:11], v[6:7]
	v_mul_f64 v[6:7], v[8:9], v[6:7]
	v_fmac_f64_e32 v[0:1], v[8:9], v[4:5]
	v_fma_f64 v[6:7], v[4:5], v[10:11], -v[6:7]
	v_mul_f64 v[4:5], v[0:1], s[2:3]
	v_mul_f64 v[6:7], v[6:7], s[2:3]
	global_store_dwordx4 v[16:17], v[4:7], off
	global_load_dwordx4 v[4:7], v19, s[6:7]
	v_mad_u64_u32 v[0:1], s[0:1], s8, v18, 0
	v_mov_b32_e32 v10, v1
	v_mad_u64_u32 v[10:11], s[0:1], s9, v18, v[10:11]
	v_add_co_u32_e32 v8, vcc, s4, v24
	v_mov_b32_e32 v1, v10
	v_addc_co_u32_e32 v9, vcc, 0, v25, vcc
	v_lshlrev_b64 v[0:1], 4, v[0:1]
	v_add_co_u32_e32 v10, vcc, v2, v0
	v_addc_co_u32_e32 v11, vcc, v3, v1, vcc
	s_mul_i32 s4, s9, 0xc60
	s_waitcnt vmcnt(0) lgkmcnt(0)
	v_mul_f64 v[0:1], v[14:15], v[6:7]
	v_mul_f64 v[2:3], v[12:13], v[6:7]
	v_fmac_f64_e32 v[0:1], v[12:13], v[4:5]
	v_fma_f64 v[2:3], v[4:5], v[14:15], -v[2:3]
	v_mul_f64 v[0:1], v[0:1], s[2:3]
	v_mul_f64 v[2:3], v[2:3], s[2:3]
	global_store_dwordx4 v[10:11], v[0:3], off
	global_load_dwordx4 v[0:3], v[8:9], off offset:1584
	ds_read_b128 v[4:7], v248 offset:26160
	v_mov_b32_e32 v8, 0xc60
	v_mad_u64_u32 v[8:9], s[0:1], s8, v8, v[16:17]
	v_add_u32_e32 v9, s4, v9
	s_waitcnt vmcnt(0) lgkmcnt(0)
	v_mul_f64 v[10:11], v[6:7], v[2:3]
	v_mul_f64 v[2:3], v[4:5], v[2:3]
	v_fmac_f64_e32 v[10:11], v[4:5], v[0:1]
	v_fma_f64 v[2:3], v[0:1], v[6:7], -v[2:3]
	v_mul_f64 v[0:1], v[10:11], s[2:3]
	v_mul_f64 v[2:3], v[2:3], s[2:3]
	global_store_dwordx4 v[8:9], v[0:3], off
.LBB0_15:
	s_endpgm
	.section	.rodata,"a",@progbits
	.p2align	6, 0x0
	.amdhsa_kernel bluestein_single_back_len1683_dim1_dp_op_CI_CI
		.amdhsa_group_segment_fixed_size 26928
		.amdhsa_private_segment_fixed_size 244
		.amdhsa_kernarg_size 104
		.amdhsa_user_sgpr_count 6
		.amdhsa_user_sgpr_private_segment_buffer 1
		.amdhsa_user_sgpr_dispatch_ptr 0
		.amdhsa_user_sgpr_queue_ptr 0
		.amdhsa_user_sgpr_kernarg_segment_ptr 1
		.amdhsa_user_sgpr_dispatch_id 0
		.amdhsa_user_sgpr_flat_scratch_init 0
		.amdhsa_user_sgpr_kernarg_preload_length 0
		.amdhsa_user_sgpr_kernarg_preload_offset 0
		.amdhsa_user_sgpr_private_segment_size 0
		.amdhsa_uses_dynamic_stack 0
		.amdhsa_system_sgpr_private_segment_wavefront_offset 1
		.amdhsa_system_sgpr_workgroup_id_x 1
		.amdhsa_system_sgpr_workgroup_id_y 0
		.amdhsa_system_sgpr_workgroup_id_z 0
		.amdhsa_system_sgpr_workgroup_info 0
		.amdhsa_system_vgpr_workitem_id 0
		.amdhsa_next_free_vgpr 512
		.amdhsa_next_free_sgpr 68
		.amdhsa_accum_offset 256
		.amdhsa_reserve_vcc 1
		.amdhsa_reserve_flat_scratch 0
		.amdhsa_float_round_mode_32 0
		.amdhsa_float_round_mode_16_64 0
		.amdhsa_float_denorm_mode_32 3
		.amdhsa_float_denorm_mode_16_64 3
		.amdhsa_dx10_clamp 1
		.amdhsa_ieee_mode 1
		.amdhsa_fp16_overflow 0
		.amdhsa_tg_split 0
		.amdhsa_exception_fp_ieee_invalid_op 0
		.amdhsa_exception_fp_denorm_src 0
		.amdhsa_exception_fp_ieee_div_zero 0
		.amdhsa_exception_fp_ieee_overflow 0
		.amdhsa_exception_fp_ieee_underflow 0
		.amdhsa_exception_fp_ieee_inexact 0
		.amdhsa_exception_int_div_zero 0
	.end_amdhsa_kernel
	.text
.Lfunc_end0:
	.size	bluestein_single_back_len1683_dim1_dp_op_CI_CI, .Lfunc_end0-bluestein_single_back_len1683_dim1_dp_op_CI_CI
                                        ; -- End function
	.section	.AMDGPU.csdata,"",@progbits
; Kernel info:
; codeLenInByte = 64448
; NumSgprs: 72
; NumVgprs: 256
; NumAgprs: 256
; TotalNumVgprs: 512
; ScratchSize: 244
; MemoryBound: 0
; FloatMode: 240
; IeeeMode: 1
; LDSByteSize: 26928 bytes/workgroup (compile time only)
; SGPRBlocks: 8
; VGPRBlocks: 63
; NumSGPRsForWavesPerEU: 72
; NumVGPRsForWavesPerEU: 512
; AccumOffset: 256
; Occupancy: 1
; WaveLimiterHint : 1
; COMPUTE_PGM_RSRC2:SCRATCH_EN: 1
; COMPUTE_PGM_RSRC2:USER_SGPR: 6
; COMPUTE_PGM_RSRC2:TRAP_HANDLER: 0
; COMPUTE_PGM_RSRC2:TGID_X_EN: 1
; COMPUTE_PGM_RSRC2:TGID_Y_EN: 0
; COMPUTE_PGM_RSRC2:TGID_Z_EN: 0
; COMPUTE_PGM_RSRC2:TIDIG_COMP_CNT: 0
; COMPUTE_PGM_RSRC3_GFX90A:ACCUM_OFFSET: 63
; COMPUTE_PGM_RSRC3_GFX90A:TG_SPLIT: 0
	.text
	.p2alignl 6, 3212836864
	.fill 256, 4, 3212836864
	.type	__hip_cuid_75f0b14ccdce5b66,@object ; @__hip_cuid_75f0b14ccdce5b66
	.section	.bss,"aw",@nobits
	.globl	__hip_cuid_75f0b14ccdce5b66
__hip_cuid_75f0b14ccdce5b66:
	.byte	0                               ; 0x0
	.size	__hip_cuid_75f0b14ccdce5b66, 1

	.ident	"AMD clang version 19.0.0git (https://github.com/RadeonOpenCompute/llvm-project roc-6.4.0 25133 c7fe45cf4b819c5991fe208aaa96edf142730f1d)"
	.section	".note.GNU-stack","",@progbits
	.addrsig
	.addrsig_sym __hip_cuid_75f0b14ccdce5b66
	.amdgpu_metadata
---
amdhsa.kernels:
  - .agpr_count:     256
    .args:
      - .actual_access:  read_only
        .address_space:  global
        .offset:         0
        .size:           8
        .value_kind:     global_buffer
      - .actual_access:  read_only
        .address_space:  global
        .offset:         8
        .size:           8
        .value_kind:     global_buffer
      - .actual_access:  read_only
        .address_space:  global
        .offset:         16
        .size:           8
        .value_kind:     global_buffer
      - .actual_access:  read_only
        .address_space:  global
        .offset:         24
        .size:           8
        .value_kind:     global_buffer
      - .actual_access:  read_only
        .address_space:  global
        .offset:         32
        .size:           8
        .value_kind:     global_buffer
      - .offset:         40
        .size:           8
        .value_kind:     by_value
      - .address_space:  global
        .offset:         48
        .size:           8
        .value_kind:     global_buffer
      - .address_space:  global
        .offset:         56
        .size:           8
        .value_kind:     global_buffer
      - .address_space:  global
        .offset:         64
        .size:           8
        .value_kind:     global_buffer
      - .address_space:  global
        .offset:         72
        .size:           8
        .value_kind:     global_buffer
      - .offset:         80
        .size:           4
        .value_kind:     by_value
      - .address_space:  global
        .offset:         88
        .size:           8
        .value_kind:     global_buffer
      - .address_space:  global
        .offset:         96
        .size:           8
        .value_kind:     global_buffer
    .group_segment_fixed_size: 26928
    .kernarg_segment_align: 8
    .kernarg_segment_size: 104
    .language:       OpenCL C
    .language_version:
      - 2
      - 0
    .max_flat_workgroup_size: 51
    .name:           bluestein_single_back_len1683_dim1_dp_op_CI_CI
    .private_segment_fixed_size: 244
    .sgpr_count:     72
    .sgpr_spill_count: 0
    .symbol:         bluestein_single_back_len1683_dim1_dp_op_CI_CI.kd
    .uniform_work_group_size: 1
    .uses_dynamic_stack: false
    .vgpr_count:     512
    .vgpr_spill_count: 60
    .wavefront_size: 64
amdhsa.target:   amdgcn-amd-amdhsa--gfx90a
amdhsa.version:
  - 1
  - 2
...

	.end_amdgpu_metadata
